;; amdgpu-corpus repo=ROCm/rocFFT kind=compiled arch=gfx906 opt=O3
	.text
	.amdgcn_target "amdgcn-amd-amdhsa--gfx906"
	.amdhsa_code_object_version 6
	.protected	bluestein_single_back_len1632_dim1_sp_op_CI_CI ; -- Begin function bluestein_single_back_len1632_dim1_sp_op_CI_CI
	.globl	bluestein_single_back_len1632_dim1_sp_op_CI_CI
	.p2align	8
	.type	bluestein_single_back_len1632_dim1_sp_op_CI_CI,@function
bluestein_single_back_len1632_dim1_sp_op_CI_CI: ; @bluestein_single_back_len1632_dim1_sp_op_CI_CI
; %bb.0:
	s_mov_b64 s[26:27], s[2:3]
	s_mov_b64 s[24:25], s[0:1]
	s_load_dwordx4 s[0:3], s[4:5], 0x28
	v_mul_u32_u24_e32 v1, 0x283, v0
	v_add_u32_sdwa v213, s6, v1 dst_sel:DWORD dst_unused:UNUSED_PAD src0_sel:DWORD src1_sel:WORD_1
	v_mov_b32_e32 v214, 0
	s_add_u32 s24, s24, s7
	s_waitcnt lgkmcnt(0)
	v_cmp_gt_u64_e32 vcc, s[0:1], v[213:214]
	s_addc_u32 s25, s25, 0
	s_and_saveexec_b64 s[0:1], vcc
	s_cbranch_execz .LBB0_23
; %bb.1:
	s_load_dwordx2 s[12:13], s[4:5], 0x0
	s_load_dwordx2 s[14:15], s[4:5], 0x38
	s_movk_i32 s0, 0x66
	v_mul_lo_u16_sdwa v1, v1, s0 dst_sel:DWORD dst_unused:UNUSED_PAD src0_sel:WORD_1 src1_sel:DWORD
	v_sub_u16_e32 v134, v0, v1
	s_movk_i32 s0, 0x60
	v_cmp_gt_u16_e64 s[0:1], s0, v134
	v_lshlrev_b32_e32 v149, 3, v134
	s_and_saveexec_b64 s[6:7], s[0:1]
	s_cbranch_execz .LBB0_3
; %bb.2:
	s_load_dwordx2 s[8:9], s[4:5], 0x18
	v_or_b32_e32 v16, 0x180, v134
	v_or_b32_e32 v36, 0x300, v134
	s_movk_i32 s18, 0x1000
	v_or_b32_e32 v54, 0x480, v134
	s_waitcnt lgkmcnt(0)
	s_load_dwordx4 s[8:11], s[8:9], 0x0
	s_waitcnt lgkmcnt(0)
	v_mad_u64_u32 v[0:1], s[16:17], s10, v213, 0
	v_mad_u64_u32 v[2:3], s[16:17], s8, v134, 0
	s_mul_i32 s17, s8, 0x600
	v_mad_u64_u32 v[4:5], s[10:11], s11, v213, v[1:2]
	v_mad_u64_u32 v[12:13], s[10:11], s8, v16, 0
	;; [unrolled: 1-line block ×3, first 2 shown]
	v_mov_b32_e32 v1, v4
	v_lshlrev_b64 v[0:1], 3, v[0:1]
	v_mov_b32_e32 v3, v5
	v_mov_b32_e32 v6, s3
	v_lshlrev_b64 v[2:3], 3, v[2:3]
	v_add_co_u32_e32 v72, vcc, s2, v0
	v_addc_co_u32_e32 v73, vcc, v6, v1, vcc
	v_add_co_u32_e32 v0, vcc, v72, v2
	v_addc_co_u32_e32 v1, vcc, v73, v3, vcc
	v_mov_b32_e32 v2, s13
	v_add_co_u32_e32 v52, vcc, s12, v149
	s_mul_i32 s2, s9, 0x300
	s_mul_hi_u32 s3, s8, 0x300
	v_addc_co_u32_e32 v53, vcc, 0, v2, vcc
	s_add_i32 s3, s3, s2
	s_mul_i32 s2, s8, 0x300
	v_mov_b32_e32 v3, s3
	v_add_co_u32_e32 v2, vcc, s2, v0
	v_addc_co_u32_e32 v3, vcc, v1, v3, vcc
	v_mov_b32_e32 v5, s3
	v_add_co_u32_e32 v4, vcc, s2, v2
	v_addc_co_u32_e32 v5, vcc, v3, v5, vcc
	v_add_co_u32_e32 v14, vcc, s2, v4
	v_mov_b32_e32 v15, s3
	v_mad_u64_u32 v[16:17], s[10:11], s9, v16, v[13:14]
	global_load_dwordx2 v[6:7], v149, s[12:13]
	global_load_dwordx2 v[8:9], v149, s[12:13] offset:768
	global_load_dwordx2 v[10:11], v149, s[12:13] offset:1536
	v_addc_co_u32_e32 v15, vcc, v5, v15, vcc
	global_load_dwordx2 v[17:18], v[0:1], off
	global_load_dwordx2 v[19:20], v[2:3], off
	global_load_dwordx2 v[21:22], v[4:5], off
	global_load_dwordx2 v[23:24], v[14:15], off
	v_mov_b32_e32 v13, v16
	s_mul_i32 s10, s9, 0x600
	s_mul_hi_u32 s11, s8, 0x600
	v_lshlrev_b64 v[0:1], 3, v[12:13]
	s_add_i32 s16, s11, s10
	v_mad_u64_u32 v[29:30], s[10:11], s8, v36, 0
	v_add_co_u32_e32 v0, vcc, v72, v0
	v_addc_co_u32_e32 v1, vcc, v73, v1, vcc
	v_mov_b32_e32 v3, s16
	v_add_co_u32_e32 v2, vcc, s17, v14
	v_mov_b32_e32 v16, v30
	v_addc_co_u32_e32 v3, vcc, v15, v3, vcc
	global_load_dwordx2 v[4:5], v[0:1], off
	global_load_dwordx2 v[12:13], v[2:3], off
	global_load_dwordx2 v[14:15], v149, s[12:13] offset:2304
	global_load_dwordx2 v[25:26], v149, s[12:13] offset:3072
	;; [unrolled: 1-line block ×3, first 2 shown]
	v_mov_b32_e32 v1, s3
	v_add_co_u32_e32 v0, vcc, s2, v2
	v_addc_co_u32_e32 v1, vcc, v3, v1, vcc
	v_add_co_u32_e32 v31, vcc, s18, v52
	v_addc_co_u32_e32 v32, vcc, 0, v53, vcc
	global_load_dwordx2 v[2:3], v[0:1], off
	v_mov_b32_e32 v35, s3
	v_add_co_u32_e32 v0, vcc, s2, v0
	v_addc_co_u32_e32 v1, vcc, v1, v35, vcc
	s_movk_i32 s18, 0x2000
	s_waitcnt vmcnt(9)
	v_mad_u64_u32 v[33:34], s[10:11], s9, v36, v[16:17]
	v_lshlrev_b32_e32 v16, 3, v36
	global_load_dwordx2 v[34:35], v[0:1], off
	v_mov_b32_e32 v30, v33
	v_lshlrev_b64 v[29:30], 3, v[29:30]
	global_load_dwordx2 v[36:37], v16, s[12:13]
	v_add_co_u32_e32 v29, vcc, v72, v29
	v_addc_co_u32_e32 v30, vcc, v73, v30, vcc
	v_mov_b32_e32 v16, s16
	v_add_co_u32_e32 v0, vcc, s17, v0
	v_addc_co_u32_e32 v1, vcc, v1, v16, vcc
	global_load_dwordx2 v[38:39], v[0:1], off
	v_mov_b32_e32 v16, s3
	v_add_co_u32_e32 v0, vcc, s2, v0
	v_addc_co_u32_e32 v1, vcc, v1, v16, vcc
	global_load_dwordx2 v[29:30], v[29:30], off
	s_nop 0
	global_load_dwordx2 v[40:41], v[0:1], off
	global_load_dwordx2 v[42:43], v[31:32], off offset:512
	global_load_dwordx2 v[44:45], v[31:32], off offset:1280
	;; [unrolled: 1-line block ×4, first 2 shown]
	v_mad_u64_u32 v[31:32], s[10:11], s8, v54, 0
	v_add_co_u32_e32 v0, vcc, s2, v0
	v_addc_co_u32_e32 v1, vcc, v1, v16, vcc
	v_mov_b32_e32 v16, v32
	v_mad_u64_u32 v[32:33], s[10:11], s9, v54, v[16:17]
	v_add_co_u32_e32 v52, vcc, s18, v52
	v_lshlrev_b64 v[31:32], 3, v[31:32]
	v_addc_co_u32_e32 v53, vcc, 0, v53, vcc
	v_add_co_u32_e32 v31, vcc, v72, v31
	v_addc_co_u32_e32 v32, vcc, v73, v32, vcc
	v_lshlrev_b32_e32 v16, 3, v54
	global_load_dwordx2 v[50:51], v[0:1], off
	global_load_dwordx2 v[54:55], v16, s[12:13]
	v_mov_b32_e32 v16, s16
	v_add_co_u32_e32 v0, vcc, s17, v0
	v_or_b32_e32 v33, 0x600, v134
	v_addc_co_u32_e32 v1, vcc, v1, v16, vcc
	v_mad_u64_u32 v[64:65], s[10:11], s8, v33, 0
	global_load_dwordx2 v[31:32], v[31:32], off
	s_nop 0
	global_load_dwordx2 v[56:57], v[0:1], off
	global_load_dwordx2 v[58:59], v[52:53], off offset:256
	global_load_dwordx2 v[60:61], v[52:53], off offset:1792
	v_mov_b32_e32 v16, s3
	v_add_co_u32_e32 v0, vcc, s2, v0
	v_addc_co_u32_e32 v1, vcc, v1, v16, vcc
	global_load_dwordx2 v[62:63], v[0:1], off
	v_add_co_u32_e32 v0, vcc, s2, v0
	v_addc_co_u32_e32 v1, vcc, v1, v16, vcc
	v_mov_b32_e32 v16, v65
	v_mad_u64_u32 v[65:66], s[2:3], s9, v33, v[16:17]
	global_load_dwordx2 v[66:67], v[0:1], off
	global_load_dwordx2 v[68:69], v[52:53], off offset:2560
	global_load_dwordx2 v[70:71], v[52:53], off offset:3328
	v_lshlrev_b32_e32 v16, 3, v33
	v_lshlrev_b64 v[0:1], 3, v[64:65]
	global_load_dwordx2 v[52:53], v16, s[12:13]
	v_add_co_u32_e32 v0, vcc, v72, v0
	v_addc_co_u32_e32 v1, vcc, v73, v1, vcc
	global_load_dwordx2 v[0:1], v[0:1], off
	v_mul_f32_e32 v16, v18, v7
	v_mul_f32_e32 v7, v17, v7
	v_fmac_f32_e32 v16, v17, v6
	v_fma_f32 v17, v18, v6, -v7
	s_waitcnt vmcnt(29)
	v_mul_f32_e32 v6, v20, v9
	v_mul_f32_e32 v7, v19, v9
	v_fmac_f32_e32 v6, v19, v8
	v_fma_f32 v7, v20, v8, -v7
	ds_write2_b64 v149, v[16:17], v[6:7] offset1:96
	s_waitcnt vmcnt(28)
	v_mul_f32_e32 v6, v22, v11
	v_mul_f32_e32 v7, v21, v11
	s_waitcnt vmcnt(24)
	v_mul_f32_e32 v8, v24, v15
	v_mul_f32_e32 v9, v23, v15
	v_fmac_f32_e32 v6, v21, v10
	v_fma_f32 v7, v22, v10, -v7
	v_fmac_f32_e32 v8, v23, v14
	v_fma_f32 v9, v24, v14, -v9
	v_add_u32_e32 v10, 0x400, v149
	ds_write2_b64 v10, v[6:7], v[8:9] offset0:64 offset1:160
	s_waitcnt vmcnt(23)
	v_mul_f32_e32 v6, v5, v26
	v_fmac_f32_e32 v6, v4, v25
	v_mul_f32_e32 v4, v4, v26
	v_fma_f32 v7, v5, v25, -v4
	s_waitcnt vmcnt(22)
	v_mul_f32_e32 v4, v13, v28
	v_mul_f32_e32 v5, v12, v28
	v_fmac_f32_e32 v4, v12, v27
	v_fma_f32 v5, v13, v27, -v5
	v_add_u32_e32 v8, 0x800, v149
	ds_write2_b64 v8, v[6:7], v[4:5] offset0:128 offset1:224
	s_waitcnt vmcnt(15)
	v_mul_f32_e32 v4, v3, v43
	v_fmac_f32_e32 v4, v2, v42
	v_mul_f32_e32 v2, v2, v43
	v_fma_f32 v5, v3, v42, -v2
	s_waitcnt vmcnt(14)
	v_mul_f32_e32 v2, v35, v45
	v_mul_f32_e32 v3, v34, v45
	v_fmac_f32_e32 v2, v34, v44
	v_fma_f32 v3, v35, v44, -v3
	v_add_u32_e32 v6, 0x1000, v149
	ds_write2_b64 v6, v[4:5], v[2:3] offset0:64 offset1:160
	v_mul_f32_e32 v2, v30, v37
	v_mul_f32_e32 v3, v29, v37
	s_waitcnt vmcnt(13)
	v_mul_f32_e32 v4, v39, v47
	v_mul_f32_e32 v5, v38, v47
	v_fmac_f32_e32 v2, v29, v36
	v_fma_f32 v3, v30, v36, -v3
	v_fmac_f32_e32 v4, v38, v46
	v_fma_f32 v5, v39, v46, -v5
	v_add_u32_e32 v6, 0x1800, v149
	ds_write2_b64 v6, v[2:3], v[4:5] offset1:96
	s_waitcnt vmcnt(12)
	v_mul_f32_e32 v2, v41, v49
	v_mul_f32_e32 v3, v40, v49
	v_fmac_f32_e32 v2, v40, v48
	v_fma_f32 v3, v41, v48, -v3
	v_add_u32_e32 v6, 0x1c00, v149
	s_waitcnt vmcnt(7)
	v_mul_f32_e32 v4, v51, v59
	v_mul_f32_e32 v5, v50, v59
	v_fmac_f32_e32 v4, v50, v58
	v_fma_f32 v5, v51, v58, -v5
	ds_write2_b64 v6, v[2:3], v[4:5] offset0:64 offset1:160
	v_mul_f32_e32 v2, v32, v55
	v_mul_f32_e32 v3, v31, v55
	s_waitcnt vmcnt(6)
	v_mul_f32_e32 v4, v57, v61
	v_mul_f32_e32 v5, v56, v61
	v_fmac_f32_e32 v2, v31, v54
	v_fma_f32 v3, v32, v54, -v3
	v_fmac_f32_e32 v4, v56, v60
	v_fma_f32 v5, v57, v60, -v5
	v_add_u32_e32 v6, 0x2000, v149
	ds_write2_b64 v6, v[2:3], v[4:5] offset0:128 offset1:224
	s_waitcnt vmcnt(3)
	v_mul_f32_e32 v2, v63, v69
	v_mul_f32_e32 v3, v62, v69
	s_waitcnt vmcnt(2)
	v_mul_f32_e32 v4, v67, v71
	v_mul_f32_e32 v5, v66, v71
	v_fmac_f32_e32 v2, v62, v68
	v_fma_f32 v3, v63, v68, -v3
	v_fmac_f32_e32 v4, v66, v70
	v_fma_f32 v5, v67, v70, -v5
	v_add_u32_e32 v6, 0x2800, v149
	ds_write2_b64 v6, v[2:3], v[4:5] offset0:64 offset1:160
	s_waitcnt vmcnt(0)
	v_mul_f32_e32 v2, v1, v53
	v_fmac_f32_e32 v2, v0, v52
	v_mul_f32_e32 v0, v0, v53
	v_fma_f32 v3, v1, v52, -v0
	ds_write_b64 v149, v[2:3] offset:12288
.LBB0_3:
	s_or_b64 exec, exec, s[6:7]
	s_load_dwordx2 s[2:3], s[4:5], 0x20
	s_load_dwordx2 s[8:9], s[4:5], 0x8
	v_mov_b32_e32 v0, 0
	v_mov_b32_e32 v1, 0
	s_waitcnt lgkmcnt(0)
	s_barrier
	s_waitcnt lgkmcnt(0)
                                        ; implicit-def: $vgpr30
                                        ; implicit-def: $vgpr32
                                        ; implicit-def: $vgpr26
                                        ; implicit-def: $vgpr22
                                        ; implicit-def: $vgpr18
                                        ; implicit-def: $vgpr14
                                        ; implicit-def: $vgpr10
                                        ; implicit-def: $vgpr6
	s_and_saveexec_b64 s[4:5], s[0:1]
	s_cbranch_execz .LBB0_5
; %bb.4:
	v_add_u32_e32 v4, 0x400, v149
	v_add_u32_e32 v8, 0x800, v149
	;; [unrolled: 1-line block ×7, first 2 shown]
	ds_read2_b64 v[0:3], v149 offset1:96
	ds_read2_b64 v[4:7], v4 offset0:64 offset1:160
	ds_read2_b64 v[8:11], v8 offset0:128 offset1:224
	;; [unrolled: 1-line block ×3, first 2 shown]
	ds_read2_b64 v[16:19], v16 offset1:96
	ds_read2_b64 v[20:23], v20 offset0:64 offset1:160
	ds_read2_b64 v[24:27], v24 offset0:128 offset1:224
	;; [unrolled: 1-line block ×3, first 2 shown]
	ds_read_b64 v[32:33], v149 offset:12288
.LBB0_5:
	s_or_b64 exec, exec, s[4:5]
	s_waitcnt lgkmcnt(0)
	v_sub_f32_e32 v72, v3, v33
	v_mul_f32_e32 v60, 0xbeb8f4ab, v72
	v_sub_f32_e32 v75, v5, v31
	v_add_f32_e32 v44, v32, v2
	v_sub_f32_e32 v82, v2, v32
	v_mov_b32_e32 v34, v60
	v_mul_f32_e32 v62, 0xbf2c7751, v75
	v_add_f32_e32 v46, v33, v3
	s_mov_b32 s6, 0x3f6eb680
	v_mul_f32_e32 v66, 0xbeb8f4ab, v82
	v_fmac_f32_e32 v34, 0x3f6eb680, v44
	v_add_f32_e32 v45, v30, v4
	v_sub_f32_e32 v85, v4, v30
	v_mov_b32_e32 v36, v62
	v_add_f32_e32 v34, v34, v0
	v_fma_f32 v35, v46, s6, -v66
	v_add_f32_e32 v49, v31, v5
	s_mov_b32 s7, 0x3f3d2fb0
	v_mul_f32_e32 v67, 0xbf2c7751, v85
	v_fmac_f32_e32 v36, 0x3f3d2fb0, v45
	v_sub_f32_e32 v78, v7, v29
	v_add_f32_e32 v35, v35, v1
	v_add_f32_e32 v34, v36, v34
	v_fma_f32 v36, v49, s7, -v67
	v_mul_f32_e32 v63, 0xbf65296c, v78
	v_add_f32_e32 v35, v36, v35
	v_add_f32_e32 v47, v28, v6
	v_sub_f32_e32 v87, v6, v28
	v_mov_b32_e32 v36, v63
	v_add_f32_e32 v51, v29, v7
	s_mov_b32 s10, 0x3ee437d1
	v_mul_f32_e32 v69, 0xbf65296c, v87
	v_fmac_f32_e32 v36, 0x3ee437d1, v47
	v_sub_f32_e32 v81, v9, v27
	v_add_f32_e32 v34, v36, v34
	v_fma_f32 v36, v51, s10, -v69
	v_mul_f32_e32 v65, 0xbf7ee86f, v81
	v_add_f32_e32 v35, v36, v35
	v_add_f32_e32 v48, v26, v8
	v_sub_f32_e32 v89, v8, v26
	v_mov_b32_e32 v36, v65
	v_add_f32_e32 v55, v27, v9
	s_mov_b32 s11, 0x3dbcf732
	v_mul_f32_e32 v71, 0xbf7ee86f, v89
	v_fmac_f32_e32 v36, 0x3dbcf732, v48
	v_sub_f32_e32 v83, v11, v25
	;; [unrolled: 12-line block ×5, first 2 shown]
	v_add_f32_e32 v34, v36, v34
	v_fma_f32 v36, v61, s18, -v79
	v_mul_f32_e32 v77, 0xbe3c28d5, v91
	v_add_f32_e32 v35, v36, v35
	v_add_f32_e32 v58, v18, v16
	v_mov_b32_e32 v36, v77
	v_sub_f32_e32 v94, v16, v18
	s_mov_b32 s19, 0xbf7ba420
	v_fmac_f32_e32 v36, 0xbf7ba420, v58
	v_add_f32_e32 v64, v19, v17
	v_mul_f32_e32 v84, 0xbe3c28d5, v94
	v_add_f32_e32 v52, v36, v34
	v_fma_f32 v34, v64, s19, -v84
	v_add_f32_e32 v53, v34, v35
	s_barrier
	s_and_saveexec_b64 s[4:5], s[0:1]
	s_cbranch_execz .LBB0_7
; %bb.6:
	v_mul_f32_e32 v96, 0x3ee437d1, v46
	v_mov_b32_e32 v34, v96
	v_mul_f32_e32 v97, 0xbf1a4643, v49
	v_fmac_f32_e32 v34, 0x3f65296c, v82
	v_mov_b32_e32 v35, v97
	v_add_f32_e32 v34, v34, v1
	v_fmac_f32_e32 v35, 0x3f4c4adb, v85
	v_mul_f32_e32 v98, 0xbf7ba420, v51
	v_add_f32_e32 v34, v35, v34
	v_mov_b32_e32 v35, v98
	v_fmac_f32_e32 v35, 0xbe3c28d5, v87
	v_mul_f32_e32 v99, 0xbe8c1d8e, v55
	v_add_f32_e32 v34, v35, v34
	v_mov_b32_e32 v35, v99
	;; [unrolled: 4-line block ×7, first 2 shown]
	v_mul_f32_e32 v105, 0xbf4c4adb, v75
	v_fmac_f32_e32 v34, 0x3ee437d1, v44
	v_mov_b32_e32 v36, v105
	v_add_f32_e32 v34, v34, v0
	v_fmac_f32_e32 v36, 0xbf1a4643, v45
	v_mul_f32_e32 v106, 0x3e3c28d5, v78
	v_add_f32_e32 v34, v36, v34
	v_mov_b32_e32 v36, v106
	v_fmac_f32_e32 v36, 0xbf7ba420, v47
	v_mul_f32_e32 v107, 0x3f763a35, v81
	v_add_f32_e32 v34, v36, v34
	v_mov_b32_e32 v36, v107
	v_fmac_f32_e32 v36, 0xbe8c1d8e, v48
	v_mul_f32_e32 v108, 0x3f2c7751, v83
	v_add_f32_e32 v34, v36, v34
	v_mov_b32_e32 v36, v108
	v_fmac_f32_e32 v36, 0x3f3d2fb0, v50
	v_mul_f32_e32 v104, 0xbeb8f4ab, v86
	v_add_f32_e32 v34, v36, v34
	v_mov_b32_e32 v36, v104
	v_fmac_f32_e32 v36, 0x3f6eb680, v54
	v_mul_f32_e32 v109, 0xbf7ee86f, v88
	v_add_f32_e32 v34, v36, v34
	v_mov_b32_e32 v36, v109
	v_fmac_f32_e32 v36, 0x3dbcf732, v56
	v_mul_f32_e32 v110, 0xbf06c442, v91
	v_add_f32_e32 v34, v36, v34
	v_mov_b32_e32 v36, v110
	v_fmac_f32_e32 v36, 0xbf59a7d5, v58
	v_mul_f32_e32 v121, 0x3dbcf732, v46
	v_add_f32_e32 v34, v36, v34
	v_mov_b32_e32 v36, v121
	v_mul_f32_e32 v122, 0xbf7ba420, v49
	v_fmac_f32_e32 v36, 0x3f7ee86f, v82
	v_mov_b32_e32 v37, v122
	v_add_f32_e32 v36, v36, v1
	v_fmac_f32_e32 v37, 0x3e3c28d5, v85
	v_mul_f32_e32 v123, 0xbe8c1d8e, v51
	v_add_f32_e32 v36, v37, v36
	v_mov_b32_e32 v37, v123
	v_fmac_f32_e32 v37, 0xbf763a35, v87
	v_mul_f32_e32 v124, 0x3f6eb680, v55
	v_add_f32_e32 v36, v37, v36
	v_mov_b32_e32 v37, v124
	v_fmac_f32_e32 v37, 0xbeb8f4ab, v89
	v_mul_f32_e32 v125, 0x3ee437d1, v57
	v_add_f32_e32 v36, v37, v36
	v_mov_b32_e32 v37, v125
	v_fmac_f32_e32 v37, 0x3f65296c, v90
	v_mul_f32_e32 v126, 0xbf59a7d5, v59
	v_add_f32_e32 v36, v37, v36
	v_mov_b32_e32 v37, v126
	v_fmac_f32_e32 v37, 0x3f06c442, v92
	v_mul_f32_e32 v127, 0xbf1a4643, v61
	v_add_f32_e32 v36, v37, v36
	v_mov_b32_e32 v37, v127
	v_fmac_f32_e32 v37, 0xbf4c4adb, v93
	v_mul_f32_e32 v128, 0xbf7ee86f, v72
	v_add_f32_e32 v36, v37, v36
	v_mov_b32_e32 v37, v128
	v_mul_f32_e32 v129, 0xbe3c28d5, v75
	v_fmac_f32_e32 v37, 0x3dbcf732, v44
	v_mov_b32_e32 v38, v129
	v_add_f32_e32 v37, v37, v0
	v_fmac_f32_e32 v38, 0xbf7ba420, v45
	v_mul_f32_e32 v130, 0x3f763a35, v78
	v_add_f32_e32 v37, v38, v37
	v_mov_b32_e32 v38, v130
	v_fmac_f32_e32 v38, 0xbe8c1d8e, v47
	v_mul_f32_e32 v131, 0x3eb8f4ab, v81
	v_add_f32_e32 v37, v38, v37
	v_mov_b32_e32 v38, v131
	v_fmac_f32_e32 v38, 0x3f6eb680, v48
	v_mul_f32_e32 v132, 0xbf65296c, v83
	v_add_f32_e32 v37, v38, v37
	v_mov_b32_e32 v38, v132
	v_fmac_f32_e32 v38, 0x3ee437d1, v50
	v_mul_f32_e32 v135, 0xbf06c442, v86
	v_add_f32_e32 v37, v38, v37
	v_mov_b32_e32 v38, v135
	v_fmac_f32_e32 v38, 0xbf59a7d5, v54
	v_mul_f32_e32 v136, 0x3f4c4adb, v88
	v_add_f32_e32 v37, v38, v37
	v_mov_b32_e32 v38, v136
	v_fmac_f32_e32 v38, 0xbf1a4643, v56
	v_mul_f32_e32 v137, 0x3f3d2fb0, v64
	v_add_f32_e32 v38, v38, v37
	v_mov_b32_e32 v37, v137
	v_fmac_f32_e32 v37, 0xbf2c7751, v94
	v_mul_f32_e32 v138, 0x3f2c7751, v91
	v_add_f32_e32 v37, v37, v36
	v_mov_b32_e32 v36, v138
	v_fmac_f32_e32 v36, 0x3f3d2fb0, v58
	v_mul_f32_e32 v119, 0xbe8c1d8e, v46
	v_add_f32_e32 v36, v36, v38
	v_mov_b32_e32 v38, v119
	v_mul_f32_e32 v120, 0xbf59a7d5, v49
	v_fmac_f32_e32 v38, 0x3f763a35, v82
	v_mov_b32_e32 v39, v120
	v_add_f32_e32 v38, v38, v1
	v_fmac_f32_e32 v39, 0xbf06c442, v85
	v_mul_f32_e32 v139, 0x3f3d2fb0, v51
	v_add_f32_e32 v38, v39, v38
	v_mov_b32_e32 v39, v139
	v_fmac_f32_e32 v39, 0xbf2c7751, v87
	v_mul_f32_e32 v140, 0x3ee437d1, v55
	v_add_f32_e32 v38, v39, v38
	v_mov_b32_e32 v39, v140
	v_fmac_f32_e32 v39, 0x3f65296c, v89
	v_mul_f32_e32 v141, 0xbf7ba420, v57
	v_add_f32_e32 v38, v39, v38
	v_mov_b32_e32 v39, v141
	v_fmac_f32_e32 v39, 0x3e3c28d5, v90
	v_mul_f32_e32 v142, 0x3dbcf732, v59
	v_add_f32_e32 v38, v39, v38
	v_mov_b32_e32 v39, v142
	v_fmac_f32_e32 v39, 0xbf7ee86f, v92
	v_mul_f32_e32 v143, 0x3f6eb680, v61
	v_add_f32_e32 v38, v39, v38
	v_mov_b32_e32 v39, v143
	v_fmac_f32_e32 v39, 0x3eb8f4ab, v93
	v_mul_f32_e32 v144, 0xbf763a35, v72
	v_add_f32_e32 v38, v39, v38
	v_mov_b32_e32 v39, v144
	v_mul_f32_e32 v145, 0x3f06c442, v75
	v_fmac_f32_e32 v39, 0xbe8c1d8e, v44
	v_mov_b32_e32 v40, v145
	v_add_f32_e32 v39, v39, v0
	v_fmac_f32_e32 v40, 0xbf59a7d5, v45
	v_mul_f32_e32 v146, 0x3f2c7751, v78
	v_add_f32_e32 v39, v40, v39
	v_mov_b32_e32 v40, v146
	;; [unrolled: 64-line block ×4, first 2 shown]
	v_fmac_f32_e32 v111, 0x3dbcf732, v47
	v_mul_f32_e32 v175, 0x3f4c4adb, v81
	v_add_f32_e32 v43, v111, v43
	v_mov_b32_e32 v111, v175
	v_fmac_f32_e32 v111, 0xbf1a4643, v48
	v_mul_f32_e32 v176, 0xbeb8f4ab, v83
	v_add_f32_e32 v43, v111, v43
	v_mov_b32_e32 v111, v176
	;; [unrolled: 4-line block ×7, first 2 shown]
	v_mul_f32_e32 v114, 0x3f6eb680, v49
	v_fmac_f32_e32 v111, 0x3e3c28d5, v82
	v_mov_b32_e32 v112, v114
	v_add_f32_e32 v111, v111, v1
	v_fmac_f32_e32 v112, 0xbeb8f4ab, v85
	v_mul_f32_e32 v181, 0xbf59a7d5, v51
	v_add_f32_e32 v111, v112, v111
	v_mov_b32_e32 v112, v181
	v_fmac_f32_e32 v112, 0x3f06c442, v87
	v_mul_f32_e32 v182, 0x3f3d2fb0, v55
	v_add_f32_e32 v111, v112, v111
	v_mov_b32_e32 v112, v182
	;; [unrolled: 4-line block ×3, first 2 shown]
	v_fmac_f32_e32 v112, 0x3f4c4adb, v90
	v_mul_f32_e32 v184, 0x3ee437d1, v59
	v_fmac_f32_e32 v96, 0xbf65296c, v82
	v_add_f32_e32 v111, v112, v111
	v_mov_b32_e32 v112, v184
	v_add_f32_e32 v96, v96, v1
	v_fmac_f32_e32 v97, 0xbf4c4adb, v85
	v_fmac_f32_e32 v112, 0xbf65296c, v92
	v_mul_f32_e32 v185, 0xbe8c1d8e, v61
	v_add_f32_e32 v96, v97, v96
	v_fmac_f32_e32 v98, 0x3e3c28d5, v87
	v_add_f32_e32 v111, v112, v111
	v_mov_b32_e32 v112, v185
	v_add_f32_e32 v96, v98, v96
	v_fmac_f32_e32 v99, 0x3f763a35, v89
	v_fma_f32 v97, v44, s10, -v103
	v_fmac_f32_e32 v112, 0x3f763a35, v93
	v_mul_f32_e32 v186, 0xbe3c28d5, v72
	v_add_f32_e32 v96, v99, v96
	v_fmac_f32_e32 v100, 0x3f2c7751, v90
	v_add_f32_e32 v97, v97, v0
	v_fma_f32 v98, v45, s17, -v105
	v_add_f32_e32 v111, v112, v111
	v_mov_b32_e32 v112, v186
	v_mul_f32_e32 v187, 0x3eb8f4ab, v75
	v_add_f32_e32 v96, v100, v96
	v_fmac_f32_e32 v101, 0xbeb8f4ab, v92
	v_add_f32_e32 v97, v98, v97
	v_fma_f32 v99, v47, s19, -v106
	v_fmac_f32_e32 v112, 0xbf7ba420, v44
	v_mov_b32_e32 v188, v187
	v_add_f32_e32 v96, v101, v96
	v_fmac_f32_e32 v102, 0xbf7ee86f, v93
	v_add_f32_e32 v97, v99, v97
	v_fma_f32 v100, v48, s16, -v107
	v_add_f32_e32 v112, v112, v0
	v_fmac_f32_e32 v188, 0x3f6eb680, v45
	v_add_f32_e32 v96, v102, v96
	v_add_f32_e32 v97, v100, v97
	v_fma_f32 v101, v50, s7, -v108
	v_fmac_f32_e32 v95, 0xbf06c442, v94
	v_add_f32_e32 v112, v188, v112
	v_mul_f32_e32 v188, 0xbf06c442, v78
	v_add_f32_e32 v97, v101, v97
	v_add_f32_e32 v96, v95, v96
	v_fma_f32 v95, v54, s6, -v104
	v_mov_b32_e32 v189, v188
	v_add_f32_e32 v95, v95, v97
	v_fma_f32 v97, v56, s11, -v109
	v_fmac_f32_e32 v189, 0xbf59a7d5, v47
	v_add_f32_e32 v95, v97, v95
	v_fma_f32 v97, v58, s18, -v110
	v_add_f32_e32 v112, v189, v112
	v_mul_f32_e32 v189, 0x3f2c7751, v81
	v_add_f32_e32 v95, v97, v95
	v_mul_f32_e32 v97, 0xbf2c7751, v82
	v_mov_b32_e32 v190, v189
	v_fmac_f32_e32 v113, 0xbe3c28d5, v82
	v_fmac_f32_e32 v114, 0x3eb8f4ab, v85
	;; [unrolled: 1-line block ×10, first 2 shown]
	v_mov_b32_e32 v82, v97
	v_mul_f32_e32 v85, 0xbf7ee86f, v85
	v_fmac_f32_e32 v190, 0x3f3d2fb0, v48
	v_fmac_f32_e32 v82, 0x3f3d2fb0, v46
	v_mov_b32_e32 v102, v85
	v_add_f32_e32 v112, v190, v112
	v_mul_f32_e32 v190, 0xbf4c4adb, v83
	v_fmac_f32_e32 v181, 0xbf06c442, v87
	v_fmac_f32_e32 v167, 0xbf7ee86f, v87
	;; [unrolled: 1-line block ×5, first 2 shown]
	v_add_f32_e32 v82, v82, v1
	v_fmac_f32_e32 v102, 0x3dbcf732, v49
	v_mul_f32_e32 v87, 0xbf4c4adb, v87
	v_mov_b32_e32 v191, v190
	v_add_f32_e32 v82, v102, v82
	v_mov_b32_e32 v102, v87
	v_fmac_f32_e32 v191, 0xbf1a4643, v50
	v_fmac_f32_e32 v182, 0x3f2c7751, v89
	;; [unrolled: 1-line block ×7, first 2 shown]
	v_mul_f32_e32 v89, 0xbe3c28d5, v89
	v_add_f32_e32 v112, v191, v112
	v_mul_f32_e32 v191, 0x3f65296c, v86
	v_add_f32_e32 v82, v102, v82
	v_mov_b32_e32 v102, v89
	v_mov_b32_e32 v192, v191
	v_fmac_f32_e32 v183, 0xbf4c4adb, v90
	v_fmac_f32_e32 v169, 0xbeb8f4ab, v90
	;; [unrolled: 1-line block ×6, first 2 shown]
	v_mul_f32_e32 v90, 0x3f06c442, v90
	v_fmac_f32_e32 v192, 0x3ee437d1, v54
	v_add_f32_e32 v82, v102, v82
	v_mov_b32_e32 v102, v90
	v_add_f32_e32 v112, v192, v112
	v_mul_f32_e32 v192, 0xbf763a35, v88
	v_fmac_f32_e32 v184, 0x3f65296c, v92
	v_fmac_f32_e32 v170, 0xbe3c28d5, v92
	;; [unrolled: 1-line block ×6, first 2 shown]
	v_mul_f32_e32 v92, 0x3f763a35, v92
	v_mov_b32_e32 v193, v192
	v_add_f32_e32 v82, v102, v82
	v_mov_b32_e32 v102, v92
	v_fmac_f32_e32 v193, 0xbe8c1d8e, v56
	v_mul_f32_e32 v194, 0x3dbcf732, v64
	v_fmac_f32_e32 v185, 0xbf763a35, v93
	v_fmac_f32_e32 v171, 0x3f2c7751, v93
	;; [unrolled: 1-line block ×6, first 2 shown]
	v_mul_f32_e32 v93, 0x3f65296c, v93
	v_add_f32_e32 v193, v193, v112
	v_mov_b32_e32 v112, v194
	v_add_f32_e32 v82, v102, v82
	v_mov_b32_e32 v102, v93
	v_fmac_f32_e32 v112, 0xbf7ee86f, v94
	v_fmac_f32_e32 v194, 0x3f7ee86f, v94
	;; [unrolled: 1-line block ×7, first 2 shown]
	v_mul_f32_e32 v94, 0x3eb8f4ab, v94
	v_add_f32_e32 v82, v102, v82
	v_mov_b32_e32 v102, v94
	v_fmac_f32_e32 v102, 0x3f6eb680, v64
	v_mul_f32_e32 v72, 0xbf2c7751, v72
	v_add_f32_e32 v82, v102, v82
	v_fma_f32 v102, v44, s7, -v72
	v_mul_f32_e32 v75, 0xbf7ee86f, v75
	v_add_f32_e32 v102, v102, v0
	v_fma_f32 v103, v45, s11, -v75
	v_mul_f32_e32 v78, 0xbf4c4adb, v78
	v_add_f32_e32 v3, v3, v1
	v_add_f32_e32 v2, v2, v0
	;; [unrolled: 1-line block ×3, first 2 shown]
	v_fma_f32 v103, v47, s17, -v78
	v_add_f32_e32 v3, v5, v3
	v_add_f32_e32 v2, v4, v2
	;; [unrolled: 1-line block ×3, first 2 shown]
	v_mul_f32_e32 v103, 0xbe3c28d5, v81
	v_add_f32_e32 v3, v7, v3
	v_add_f32_e32 v2, v6, v2
	v_fma_f32 v81, v48, s19, -v103
	v_mul_f32_e32 v83, 0x3f06c442, v83
	v_add_f32_e32 v3, v9, v3
	v_add_f32_e32 v2, v8, v2
	;; [unrolled: 1-line block ×3, first 2 shown]
	v_fma_f32 v102, v50, s18, -v83
	v_mul_f32_e32 v86, 0x3f763a35, v86
	v_add_f32_e32 v3, v11, v3
	v_add_f32_e32 v2, v10, v2
	v_mul_f32_e32 v99, 0x3f6eb680, v46
	v_add_f32_e32 v81, v102, v81
	v_fma_f32 v102, v54, s16, -v86
	v_mul_f32_e32 v88, 0x3f65296c, v88
	v_add_f32_e32 v3, v13, v3
	v_add_f32_e32 v2, v12, v2
	v_mul_f32_e32 v195, 0x3f7ee86f, v91
	v_mul_f32_e32 v98, 0x3f6eb680, v44
	v_add_f32_e32 v81, v102, v81
	v_fma_f32 v102, v56, s10, -v88
	v_mul_f32_e32 v91, 0x3eb8f4ab, v91
	v_add_f32_e32 v66, v66, v99
	v_add_f32_e32 v3, v15, v3
	;; [unrolled: 1-line block ×3, first 2 shown]
	v_fma_f32 v4, v46, s7, -v97
	v_add_f32_e32 v113, v113, v1
	v_add_f32_e32 v115, v115, v1
	;; [unrolled: 1-line block ×5, first 2 shown]
	v_mul_f32_e32 v100, 0x3f3d2fb0, v45
	v_mul_f32_e32 v101, 0x3f3d2fb0, v49
	v_add_f32_e32 v81, v102, v81
	v_fma_f32 v102, v58, s6, -v91
	v_add_f32_e32 v66, v66, v1
	v_sub_f32_e32 v60, v98, v60
	v_add_f32_e32 v3, v17, v3
	v_add_f32_e32 v2, v16, v2
	;; [unrolled: 1-line block ×3, first 2 shown]
	v_fma_f32 v4, v49, s11, -v85
	v_add_f32_e32 v113, v114, v113
	v_fma_f32 v114, v44, s19, -v186
	v_add_f32_e32 v115, v116, v115
	;; [unrolled: 2-line block ×6, first 2 shown]
	v_mul_f32_e32 v102, 0x3ee437d1, v47
	v_mul_f32_e32 v104, 0x3ee437d1, v51
	v_add_f32_e32 v67, v67, v101
	v_add_f32_e32 v60, v60, v0
	v_sub_f32_e32 v62, v100, v62
	v_add_f32_e32 v3, v19, v3
	v_add_f32_e32 v2, v18, v2
	v_add_f32_e32 v1, v4, v1
	v_fma_f32 v4, v51, s17, -v87
	v_fmac_f32_e32 v72, 0x3f3d2fb0, v44
	v_add_f32_e32 v113, v181, v113
	v_add_f32_e32 v114, v114, v0
	v_fma_f32 v181, v45, s6, -v187
	v_add_f32_e32 v115, v167, v115
	v_add_f32_e32 v116, v116, v0
	v_fma_f32 v167, v45, s10, -v173
	;; [unrolled: 3-line block ×5, first 2 shown]
	v_mul_f32_e32 v99, 0x3dbcf732, v48
	v_mul_f32_e32 v101, 0x3dbcf732, v55
	v_add_f32_e32 v66, v67, v66
	v_add_f32_e32 v69, v69, v104
	;; [unrolled: 1-line block ×3, first 2 shown]
	v_sub_f32_e32 v62, v102, v63
	v_add_f32_e32 v3, v21, v3
	v_add_f32_e32 v2, v20, v2
	;; [unrolled: 1-line block ×3, first 2 shown]
	v_fma_f32 v4, v55, s19, -v89
	v_add_f32_e32 v0, v72, v0
	v_fmac_f32_e32 v75, 0x3dbcf732, v45
	v_add_f32_e32 v114, v181, v114
	v_fma_f32 v181, v47, s18, -v188
	v_add_f32_e32 v116, v167, v116
	v_fma_f32 v167, v47, s11, -v174
	;; [unrolled: 2-line block ×5, first 2 shown]
	v_mul_f32_e32 v67, 0xbe8c1d8e, v50
	v_mul_f32_e32 v104, 0xbe8c1d8e, v57
	v_add_f32_e32 v66, v69, v66
	v_add_f32_e32 v71, v71, v101
	v_add_f32_e32 v60, v62, v60
	v_sub_f32_e32 v62, v99, v65
	v_add_f32_e32 v3, v23, v3
	v_add_f32_e32 v2, v22, v2
	v_add_f32_e32 v1, v4, v1
	v_fma_f32 v4, v57, s18, -v90
	v_add_f32_e32 v0, v75, v0
	v_fmac_f32_e32 v78, 0xbf1a4643, v47
	v_add_f32_e32 v113, v182, v113
	v_add_f32_e32 v114, v181, v114
	v_fma_f32 v181, v48, s7, -v189
	v_add_f32_e32 v115, v168, v115
	v_add_f32_e32 v116, v167, v116
	v_fma_f32 v167, v48, s17, -v175
	v_add_f32_e32 v117, v154, v117
	v_add_f32_e32 v118, v153, v118
	v_fma_f32 v153, v48, s18, -v161
	v_add_f32_e32 v119, v140, v119
	v_add_f32_e32 v120, v139, v120
	v_fma_f32 v139, v48, s10, -v147
	v_add_f32_e32 v121, v124, v121
	v_add_f32_e32 v122, v123, v122
	v_fma_f32 v123, v48, s6, -v131
	v_mul_f32_e32 v69, 0xbf1a4643, v54
	v_mul_f32_e32 v101, 0xbf1a4643, v59
	v_add_f32_e32 v66, v71, v66
	v_add_f32_e32 v73, v73, v104
	v_add_f32_e32 v60, v62, v60
	v_sub_f32_e32 v62, v67, v68
	v_add_f32_e32 v3, v25, v3
	v_add_f32_e32 v2, v24, v2
	v_add_f32_e32 v1, v4, v1
	v_fma_f32 v4, v59, s16, -v92
	v_add_f32_e32 v0, v78, v0
	v_fmac_f32_e32 v103, 0xbf7ba420, v48
	v_add_f32_e32 v113, v183, v113
	v_add_f32_e32 v114, v181, v114
	v_fma_f32 v181, v50, s17, -v190
	v_add_f32_e32 v115, v169, v115
	v_add_f32_e32 v116, v167, v116
	v_fma_f32 v167, v50, s6, -v176
	v_add_f32_e32 v117, v155, v117
	v_add_f32_e32 v118, v153, v118
	v_fma_f32 v153, v50, s11, -v162
	v_add_f32_e32 v119, v141, v119
	v_add_f32_e32 v120, v139, v120
	v_fma_f32 v139, v50, s19, -v148
	v_add_f32_e32 v121, v125, v121
	v_add_f32_e32 v122, v123, v122
	v_fma_f32 v123, v50, s10, -v132
	;; [unrolled: 27-line block ×3, first 2 shown]
	v_mul_f32_e32 v73, 0xbf7ba420, v58
	v_mul_f32_e32 v101, 0xbf7ba420, v64
	v_add_f32_e32 v66, v76, v66
	v_add_f32_e32 v76, v79, v104
	;; [unrolled: 1-line block ×3, first 2 shown]
	v_sub_f32_e32 v62, v71, v74
	v_add_f32_e32 v3, v29, v3
	v_add_f32_e32 v2, v28, v2
	v_add_f32_e32 v1, v4, v1
	v_fma_f32 v4, v64, s6, -v94
	v_add_f32_e32 v0, v83, v0
	v_fmac_f32_e32 v86, 0xbe8c1d8e, v54
	v_add_f32_e32 v112, v112, v111
	v_mov_b32_e32 v111, v195
	v_add_f32_e32 v113, v185, v113
	v_add_f32_e32 v114, v181, v114
	v_fma_f32 v181, v56, s16, -v192
	v_add_f32_e32 v115, v171, v115
	v_add_f32_e32 v116, v167, v116
	v_fma_f32 v167, v56, s7, -v178
	;; [unrolled: 3-line block ×5, first 2 shown]
	v_add_f32_e32 v66, v76, v66
	v_add_f32_e32 v76, v84, v101
	;; [unrolled: 1-line block ×3, first 2 shown]
	v_sub_f32_e32 v62, v73, v77
	v_add_f32_e32 v3, v31, v3
	v_add_f32_e32 v2, v30, v2
	;; [unrolled: 1-line block ×4, first 2 shown]
	v_fmac_f32_e32 v88, 0x3ee437d1, v56
	v_mul_lo_u16_e32 v4, 17, v134
	v_fmac_f32_e32 v111, 0x3dbcf732, v58
	v_add_f32_e32 v181, v181, v114
	v_add_f32_e32 v114, v194, v113
	v_fma_f32 v113, v58, s11, -v195
	v_add_f32_e32 v167, v167, v116
	v_add_f32_e32 v116, v179, v115
	v_fma_f32 v115, v58, s16, -v180
	;; [unrolled: 3-line block ×5, first 2 shown]
	v_add_f32_e32 v66, v76, v66
	v_add_f32_e32 v65, v62, v60
	;; [unrolled: 1-line block ×5, first 2 shown]
	v_fmac_f32_e32 v91, 0x3f6eb680, v58
	v_lshlrev_b32_e32 v4, 3, v4
	v_add_f32_e32 v111, v111, v193
	v_add_f32_e32 v113, v113, v181
	;; [unrolled: 1-line block ×7, first 2 shown]
	ds_write2_b64 v4, v[2:3], v[65:66] offset1:1
	ds_write2_b64 v4, v[81:82], v[95:96] offset0:2 offset1:3
	ds_write2_b64 v4, v[121:122], v[119:120] offset0:4 offset1:5
	;; [unrolled: 1-line block ×7, first 2 shown]
	ds_write_b64 v4, v[52:53] offset:128
.LBB0_7:
	s_or_b64 exec, exec, s[4:5]
	s_load_dwordx4 s[4:7], s[2:3], 0x0
	s_movk_i32 s2, 0x132
	v_add_co_u32_e32 v1, vcc, s2, v134
	s_movk_i32 s2, 0x198
	v_add_co_u32_e32 v0, vcc, s2, v134
	s_movk_i32 s2, 0x264
	v_add_co_u32_e32 v7, vcc, s2, v134
	s_movk_i32 s2, 0x2ca
	v_add_co_u32_e32 v11, vcc, s2, v134
	s_movk_i32 s2, 0xf1
	v_mul_lo_u16_sdwa v45, v134, s2 dst_sel:DWORD dst_unused:UNUSED_PAD src0_sel:BYTE_0 src1_sel:DWORD
	v_lshrrev_b16_e32 v46, 12, v45
	v_mul_lo_u16_e32 v3, 17, v46
	v_sub_u16_e32 v3, v134, v3
	v_and_b32_e32 v47, 0xff, v3
	v_add_u16_e32 v3, 0x66, v134
	v_mul_lo_u16_sdwa v48, v3, s2 dst_sel:DWORD dst_unused:UNUSED_PAD src0_sel:BYTE_0 src1_sel:DWORD
	v_lshrrev_b16_e32 v49, 12, v48
	v_mul_lo_u16_e32 v4, 17, v49
	v_add_co_u32_e32 v2, vcc, 0xcc, v134
	v_sub_u16_e32 v4, v3, v4
	s_mov_b32 s2, 0xf0f1
	v_and_b32_e32 v50, 0xff, v4
	v_mul_u32_u24_sdwa v4, v2, s2 dst_sel:DWORD dst_unused:UNUSED_PAD src0_sel:WORD_0 src1_sel:DWORD
	v_lshrrev_b32_e32 v51, 20, v4
	v_mul_lo_u16_e32 v8, 17, v51
	v_sub_u16_e32 v54, v2, v8
	v_mul_u32_u24_sdwa v8, v1, s2 dst_sel:DWORD dst_unused:UNUSED_PAD src0_sel:WORD_0 src1_sel:DWORD
	v_lshrrev_b32_e32 v55, 20, v8
	v_add_u16_e32 v60, 0x1fe, v134
	v_mul_lo_u16_e32 v10, 17, v55
	v_mul_u32_u24_sdwa v12, v0, s2 dst_sel:DWORD dst_unused:UNUSED_PAD src0_sel:WORD_0 src1_sel:DWORD
	v_mul_u32_u24_e32 v61, 0xf0f1, v60
	v_lshlrev_b32_e32 v5, 3, v47
	v_lshlrev_b32_e32 v6, 3, v50
	v_sub_u16_e32 v56, v1, v10
	v_lshrrev_b32_e32 v57, 20, v12
	v_lshrrev_b32_e32 v59, 20, v61
	s_waitcnt lgkmcnt(0)
	s_barrier
	v_lshlrev_b32_e32 v9, 3, v54
	v_lshlrev_b32_e32 v10, 3, v56
	global_load_dwordx2 v[87:88], v5, s[8:9]
	global_load_dwordx2 v[85:86], v6, s[8:9]
	;; [unrolled: 1-line block ×4, first 2 shown]
	v_mul_lo_u16_e32 v5, 17, v57
	v_mul_lo_u16_e32 v6, 17, v59
	v_sub_u16_e32 v58, v0, v5
	v_sub_u16_e32 v62, v60, v6
	v_mul_u32_u24_sdwa v63, v7, s2 dst_sel:DWORD dst_unused:UNUSED_PAD src0_sel:WORD_0 src1_sel:DWORD
	v_lshlrev_b32_e32 v5, 3, v58
	v_lshlrev_b32_e32 v6, 3, v62
	v_lshrrev_b32_e32 v64, 20, v63
	global_load_dwordx2 v[91:92], v5, s[8:9]
	global_load_dwordx2 v[89:90], v6, s[8:9]
	v_mul_lo_u16_e32 v5, 17, v64
	v_sub_u16_e32 v65, v7, v5
	v_mul_u32_u24_sdwa v66, v11, s2 dst_sel:DWORD dst_unused:UNUSED_PAD src0_sel:WORD_0 src1_sel:DWORD
	v_lshlrev_b32_e32 v5, 3, v65
	v_lshrrev_b32_e32 v67, 20, v66
	global_load_dwordx2 v[95:96], v5, s[8:9]
	v_mul_lo_u16_e32 v5, 17, v67
	v_sub_u16_e32 v68, v11, v5
	v_lshlrev_b32_e32 v5, 3, v68
	global_load_dwordx2 v[93:94], v5, s[8:9]
	v_mov_b32_e32 v5, 3
	v_lshlrev_b32_sdwa v135, v5, v134 dst_sel:DWORD dst_unused:UNUSED_PAD src0_sel:DWORD src1_sel:WORD_0
	v_add_u32_e32 v69, 0x1800, v135
	ds_read2_b64 v[17:20], v69 offset0:48 offset1:150
	v_add_u32_e32 v71, 0x1c00, v135
	ds_read2_b64 v[25:28], v71 offset0:124 offset1:226
	;; [unrolled: 2-line block ×4, first 2 shown]
	ds_read2_b64 v[13:16], v135 offset1:102
	v_add_u32_e32 v70, 0x400, v135
	ds_read2_b64 v[21:24], v70 offset0:76 offset1:178
	v_add_u32_e32 v72, 0x800, v135
	ds_read2_b64 v[29:32], v72 offset0:152 offset1:254
	;; [unrolled: 2-line block ×3, first 2 shown]
	s_waitcnt vmcnt(0) lgkmcnt(0)
	s_barrier
	v_lshrrev_b16_e32 v45, 13, v45
	v_lshrrev_b32_e32 v63, 21, v63
	s_movk_i32 s17, 0x44
	s_movk_i32 s16, 0xcc
	v_cmp_gt_u16_e64 s[2:3], 34, v134
	v_mul_f32_e32 v5, v18, v88
	v_mul_f32_e32 v9, v20, v86
	v_fma_f32 v5, v17, v87, -v5
	v_mul_f32_e32 v6, v17, v88
	v_fma_f32 v17, v19, v85, -v9
	v_mul_f32_e32 v9, v26, v84
	v_fmac_f32_e32 v6, v18, v87
	v_mul_f32_e32 v18, v19, v86
	v_fma_f32 v19, v25, v83, -v9
	v_mul_f32_e32 v9, v28, v82
	v_fmac_f32_e32 v18, v20, v85
	;; [unrolled: 4-line block ×5, first 2 shown]
	v_mul_f32_e32 v34, v35, v90
	v_fma_f32 v35, v41, v95, -v9
	v_mul_f32_e32 v9, v44, v94
	v_sub_f32_e32 v5, v13, v5
	v_fmac_f32_e32 v34, v36, v89
	v_mul_f32_e32 v36, v41, v96
	v_fma_f32 v41, v43, v93, -v9
	v_fma_f32 v9, v13, 2.0, -v5
	v_sub_f32_e32 v13, v15, v17
	v_sub_f32_e32 v17, v21, v19
	v_fma_f32 v19, v21, 2.0, -v17
	v_sub_f32_e32 v21, v23, v25
	v_sub_f32_e32 v25, v29, v27
	;; [unrolled: 3-line block ×3, first 2 shown]
	v_fma_f32 v35, v37, 2.0, -v33
	v_sub_f32_e32 v37, v39, v41
	v_mul_lo_u16_e32 v41, 34, v46
	v_sub_f32_e32 v6, v14, v6
	v_and_b32_e32 v41, 0xfe, v41
	v_fma_f32 v10, v14, 2.0, -v6
	v_add_lshl_u32 v133, v41, v47, 3
	ds_write2_b64 v133, v[9:10], v[5:6] offset1:17
	v_mul_u32_u24_e32 v5, 34, v49
	v_add_lshl_u32 v136, v5, v50, 3
	v_mad_legacy_u16 v5, v51, 34, v54
	v_lshlrev_b32_e32 v137, 3, v5
	v_mad_legacy_u16 v5, v55, 34, v56
	v_lshlrev_b32_e32 v138, 3, v5
	;; [unrolled: 2-line block ×4, first 2 shown]
	v_mad_legacy_u16 v5, v64, 34, v65
	v_sub_f32_e32 v14, v16, v18
	v_sub_f32_e32 v18, v22, v20
	v_lshlrev_b32_e32 v141, 3, v5
	v_mad_legacy_u16 v5, v67, 34, v68
	v_lshrrev_b16_e32 v47, 13, v48
	v_fmac_f32_e32 v36, v42, v95
	v_mul_f32_e32 v42, v43, v94
	v_fma_f32 v20, v22, 2.0, -v18
	v_sub_f32_e32 v22, v24, v26
	v_sub_f32_e32 v26, v30, v28
	v_lshlrev_b32_e32 v142, 3, v5
	v_mul_lo_u16_e32 v5, 34, v45
	v_mul_lo_u16_e32 v6, 34, v47
	v_fmac_f32_e32 v42, v44, v93
	v_fma_f32 v28, v30, 2.0, -v26
	v_sub_f32_e32 v30, v32, v34
	v_sub_f32_e32 v34, v38, v36
	v_sub_u16_e32 v5, v134, v5
	v_sub_u16_e32 v6, v3, v6
	v_lshrrev_b32_e32 v49, 21, v4
	v_fma_f32 v36, v38, 2.0, -v34
	v_sub_f32_e32 v38, v40, v42
	v_and_b32_e32 v46, 0xff, v5
	v_and_b32_e32 v48, 0xff, v6
	v_mul_lo_u16_e32 v9, 34, v49
	v_lshrrev_b32_e32 v51, 21, v8
	v_fma_f32 v15, v15, 2.0, -v13
	v_fma_f32 v16, v16, 2.0, -v14
	;; [unrolled: 1-line block ×8, first 2 shown]
	v_lshlrev_b32_e32 v5, 3, v46
	v_lshlrev_b32_e32 v6, 3, v48
	v_sub_u16_e32 v50, v2, v9
	v_mul_lo_u16_e32 v9, 34, v51
	ds_write2_b64 v136, v[15:16], v[13:14] offset1:17
	ds_write2_b64 v137, v[19:20], v[17:18] offset1:17
	;; [unrolled: 1-line block ×7, first 2 shown]
	s_waitcnt lgkmcnt(0)
	s_barrier
	global_load_dwordx2 v[99:100], v5, s[8:9] offset:136
	global_load_dwordx2 v[103:104], v6, s[8:9] offset:136
	v_lshlrev_b32_e32 v5, 3, v50
	v_sub_u16_e32 v56, v1, v9
	v_lshrrev_b32_e32 v57, 21, v12
	v_lshlrev_b32_e32 v6, 3, v56
	global_load_dwordx2 v[101:102], v5, s[8:9] offset:136
	global_load_dwordx2 v[97:98], v6, s[8:9] offset:136
	v_mul_lo_u16_e32 v5, 34, v57
	v_lshrrev_b32_e32 v59, 21, v61
	v_sub_u16_e32 v58, v0, v5
	v_mul_lo_u16_e32 v6, 34, v59
	v_lshlrev_b32_e32 v5, 3, v58
	v_sub_u16_e32 v62, v60, v6
	v_mul_lo_u16_e32 v6, 34, v63
	global_load_dwordx2 v[105:106], v5, s[8:9] offset:136
	v_lshlrev_b32_e32 v5, 3, v62
	v_sub_u16_e32 v7, v7, v6
	global_load_dwordx2 v[107:108], v5, s[8:9] offset:136
	v_lshlrev_b32_e32 v5, 3, v7
	v_lshrrev_b32_e32 v64, 21, v66
	global_load_dwordx2 v[111:112], v5, s[8:9] offset:136
	v_mul_lo_u16_e32 v5, 34, v64
	v_sub_u16_e32 v11, v11, v5
	v_lshlrev_b32_e32 v5, 3, v11
	global_load_dwordx2 v[109:110], v5, s[8:9] offset:136
	ds_read2_b64 v[13:16], v135 offset1:102
	ds_read2_b64 v[17:20], v69 offset0:48 offset1:150
	ds_read2_b64 v[21:24], v70 offset0:76 offset1:178
	;; [unrolled: 1-line block ×7, first 2 shown]
	s_waitcnt vmcnt(0) lgkmcnt(0)
	s_barrier
	v_mul_f32_e32 v5, v18, v100
	v_mul_f32_e32 v9, v20, v104
	v_fma_f32 v5, v17, v99, -v5
	v_mul_f32_e32 v6, v17, v100
	v_fma_f32 v17, v19, v103, -v9
	v_mul_f32_e32 v9, v26, v102
	v_fmac_f32_e32 v6, v18, v99
	v_mul_f32_e32 v18, v19, v104
	v_fma_f32 v19, v25, v101, -v9
	v_mul_f32_e32 v9, v28, v98
	v_fmac_f32_e32 v18, v20, v103
	v_mul_f32_e32 v20, v25, v102
	v_fma_f32 v25, v27, v97, -v9
	v_fmac_f32_e32 v20, v26, v101
	v_mul_f32_e32 v9, v34, v106
	v_mul_f32_e32 v26, v27, v98
	v_fma_f32 v27, v33, v105, -v9
	v_mul_f32_e32 v9, v36, v108
	v_fmac_f32_e32 v26, v28, v97
	v_mul_f32_e32 v28, v33, v106
	v_fma_f32 v33, v35, v107, -v9
	v_mul_f32_e32 v9, v42, v112
	v_fmac_f32_e32 v28, v34, v105
	v_mul_f32_e32 v34, v35, v108
	v_fma_f32 v35, v41, v111, -v9
	v_mul_f32_e32 v9, v44, v110
	v_sub_f32_e32 v5, v13, v5
	v_fmac_f32_e32 v34, v36, v107
	v_mul_f32_e32 v36, v41, v112
	v_fma_f32 v41, v43, v109, -v9
	v_fma_f32 v9, v13, 2.0, -v5
	v_sub_f32_e32 v13, v15, v17
	v_sub_f32_e32 v17, v21, v19
	v_fma_f32 v19, v21, 2.0, -v17
	v_sub_f32_e32 v21, v23, v25
	v_sub_f32_e32 v25, v29, v27
	;; [unrolled: 3-line block ×3, first 2 shown]
	v_sub_f32_e32 v54, v39, v41
	v_fma_f32 v35, v37, 2.0, -v33
	v_fma_f32 v37, v39, 2.0, -v54
	v_mul_lo_u16_e32 v39, 0x44, v45
	v_sub_f32_e32 v6, v14, v6
	v_and_b32_e32 v39, 0xfc, v39
	v_fma_f32 v10, v14, 2.0, -v6
	v_add_lshl_u32 v143, v39, v46, 3
	ds_write2_b64 v143, v[9:10], v[5:6] offset1:34
	v_mul_u32_u24_e32 v5, 0x44, v47
	v_add_lshl_u32 v144, v5, v48, 3
	v_mad_legacy_u16 v5, v49, s17, v50
	v_lshlrev_b32_e32 v145, 3, v5
	v_mad_legacy_u16 v5, v51, s17, v56
	v_lshlrev_b32_e32 v146, 3, v5
	v_mad_legacy_u16 v5, v57, s17, v58
	v_fmac_f32_e32 v36, v42, v111
	v_mul_f32_e32 v42, v43, v110
	v_sub_f32_e32 v14, v16, v18
	v_sub_f32_e32 v18, v22, v20
	v_lshlrev_b32_e32 v147, 3, v5
	v_mad_legacy_u16 v5, v59, s17, v62
	v_fmac_f32_e32 v42, v44, v109
	v_fma_f32 v20, v22, 2.0, -v18
	v_sub_f32_e32 v22, v24, v26
	v_sub_f32_e32 v26, v30, v28
	v_lshlrev_b32_e32 v148, 3, v5
	v_mad_legacy_u16 v5, v63, s17, v7
	v_fma_f32 v28, v30, 2.0, -v26
	v_sub_f32_e32 v30, v32, v34
	v_sub_f32_e32 v34, v38, v36
	;; [unrolled: 1-line block ×3, first 2 shown]
	v_lshlrev_b32_e32 v150, 3, v5
	v_mad_legacy_u16 v5, v64, s17, v11
	v_fma_f32 v15, v15, 2.0, -v13
	v_fma_f32 v16, v16, 2.0, -v14
	v_fma_f32 v23, v23, 2.0, -v21
	v_fma_f32 v24, v24, 2.0, -v22
	v_fma_f32 v31, v31, 2.0, -v29
	v_fma_f32 v32, v32, 2.0, -v30
	v_fma_f32 v36, v38, 2.0, -v34
	v_fma_f32 v38, v40, 2.0, -v55
	v_lshlrev_b32_e32 v151, 3, v5
	v_add_u32_e32 v5, 0xc00, v135
	ds_write2_b64 v144, v[15:16], v[13:14] offset1:34
	ds_write2_b64 v145, v[19:20], v[17:18] offset1:34
	;; [unrolled: 1-line block ×7, first 2 shown]
	s_waitcnt lgkmcnt(0)
	s_barrier
	ds_read2_b64 v[24:27], v5 offset0:24 offset1:160
	v_add_u32_e32 v5, 0x2000, v135
	ds_read2_b64 v[32:35], v135 offset1:102
	ds_read2_b64 v[36:39], v5 offset0:64 offset1:166
	ds_read2_b64 v[40:43], v74 offset0:134 offset1:236
	;; [unrolled: 1-line block ×5, first 2 shown]
	ds_read_b64 v[56:57], v135 offset:11968
                                        ; implicit-def: $vgpr58
	s_and_saveexec_b64 s[10:11], s[2:3]
	s_cbranch_execz .LBB0_9
; %bb.8:
	ds_read_b64 v[54:55], v135 offset:4080
	ds_read_b64 v[52:53], v135 offset:8432
	;; [unrolled: 1-line block ×3, first 2 shown]
.LBB0_9:
	s_or_b64 exec, exec, s[10:11]
	v_lshrrev_b32_e32 v64, 22, v4
	v_mul_lo_u16_e32 v4, 0x44, v64
	v_add_co_u32_e32 v5, vcc, 0xffffffbc, v134
	v_sub_u16_e32 v65, v2, v4
	v_addc_co_u32_e64 v6, s[10:11], 0, -1, vcc
	v_cmp_gt_u16_e32 vcc, s17, v134
	v_lshlrev_b16_e32 v2, 4, v65
	v_lshrrev_b32_e32 v66, 22, v8
	v_cndmask_b32_e64 v63, v6, 0, vcc
	v_cndmask_b32_e32 v62, v5, v134, vcc
	v_add_co_u32_e32 v4, vcc, s8, v2
	v_mul_lo_u16_e32 v2, 0x44, v66
	v_lshlrev_b64 v[13:14], 4, v[62:63]
	v_mov_b32_e32 v63, s9
	v_sub_u16_e32 v67, v1, v2
	v_addc_co_u32_e32 v5, vcc, 0, v63, vcc
	v_lshlrev_b16_e32 v1, 4, v67
	v_add_co_u32_e32 v1, vcc, s8, v1
	v_addc_co_u32_e32 v2, vcc, 0, v63, vcc
	global_load_dwordx4 v[8:11], v[1:2], off offset:408
	v_add_co_u32_e32 v1, vcc, s8, v13
	v_addc_co_u32_e32 v2, vcc, v63, v14, vcc
	s_movk_i32 s10, 0x79
	global_load_dwordx4 v[20:23], v[1:2], off offset:408
	v_mul_lo_u16_sdwa v1, v3, s10 dst_sel:DWORD dst_unused:UNUSED_PAD src0_sel:BYTE_0 src1_sel:DWORD
	v_lshrrev_b16_e32 v68, 13, v1
	v_mul_lo_u16_e32 v1, 0x44, v68
	v_sub_u16_e32 v1, v3, v1
	v_and_b32_e32 v69, 0xff, v1
	global_load_dwordx4 v[4:7], v[4:5], off offset:408
	v_lshlrev_b32_e32 v1, 4, v69
	global_load_dwordx4 v[16:19], v1, s[8:9] offset:408
	v_lshrrev_b32_e32 v70, 22, v12
	v_mul_lo_u16_e32 v1, 0x44, v70
	v_sub_u16_e32 v71, v0, v1
	v_lshlrev_b16_e32 v0, 4, v71
	v_add_co_u32_e32 v0, vcc, s8, v0
	v_addc_co_u32_e32 v1, vcc, 0, v63, vcc
	global_load_dwordx4 v[12:15], v[0:1], off offset:408
	v_lshrrev_b32_e32 v0, 22, v61
	v_mul_lo_u16_e32 v0, 0x44, v0
	v_sub_u16_e32 v60, v60, v0
	v_lshlrev_b16_e32 v0, 4, v60
	v_add_co_u32_e32 v0, vcc, s8, v0
	v_addc_co_u32_e32 v1, vcc, 0, v63, vcc
	global_load_dwordx4 v[0:3], v[0:1], off offset:408
	s_movk_i32 s10, 0x43
	v_cmp_lt_u16_e32 vcc, s10, v134
	s_waitcnt vmcnt(0) lgkmcnt(0)
	s_barrier
	v_lshlrev_b32_e32 v152, 3, v60
	v_mul_f32_e32 v75, v44, v9
	v_mul_f32_e32 v74, v45, v9
	v_fmac_f32_e32 v75, v45, v8
	v_fma_f32 v74, v44, v8, -v74
	v_mul_f32_e32 v76, v51, v11
	v_fma_f32 v76, v50, v10, -v76
	v_mul_f32_e32 v77, v27, v21
	v_mul_f32_e32 v79, v37, v23
	;; [unrolled: 1-line block ×4, first 2 shown]
	v_fmac_f32_e32 v78, v27, v20
	v_fmac_f32_e32 v113, v37, v22
	v_mul_f32_e32 v61, v43, v5
	v_mul_f32_e32 v63, v42, v5
	;; [unrolled: 1-line block ×4, first 2 shown]
	v_fma_f32 v61, v42, v4, -v61
	v_fmac_f32_e32 v63, v43, v4
	v_fma_f32 v72, v48, v6, -v72
	v_fma_f32 v42, v26, v20, -v77
	;; [unrolled: 1-line block ×3, first 2 shown]
	v_mul_f32_e32 v48, v38, v19
	v_mul_f32_e32 v27, v39, v19
	v_fmac_f32_e32 v48, v39, v18
	v_add_f32_e32 v39, v42, v43
	v_mul_f32_e32 v26, v41, v17
	v_mul_f32_e32 v45, v40, v17
	v_fma_f32 v77, v38, v18, -v27
	v_add_f32_e32 v38, v32, v42
	v_fma_f32 v32, -0.5, v39, v32
	v_fmac_f32_e32 v73, v49, v6
	v_fma_f32 v49, v40, v16, -v26
	v_fmac_f32_e32 v45, v41, v16
	v_sub_f32_e32 v39, v78, v113
	v_mov_b32_e32 v40, v32
	v_add_f32_e32 v41, v78, v113
	v_fmac_f32_e32 v40, 0x3f5db3d7, v39
	v_fmac_f32_e32 v32, 0xbf5db3d7, v39
	v_add_f32_e32 v39, v33, v78
	v_fma_f32 v33, -0.5, v41, v33
	v_add_f32_e32 v38, v38, v43
	v_sub_f32_e32 v42, v42, v43
	v_mov_b32_e32 v41, v33
	v_add_f32_e32 v43, v49, v77
	v_fmac_f32_e32 v41, 0xbf5db3d7, v42
	v_fmac_f32_e32 v33, 0x3f5db3d7, v42
	v_add_f32_e32 v42, v34, v49
	v_fma_f32 v34, -0.5, v43, v34
	v_sub_f32_e32 v43, v45, v48
	v_mov_b32_e32 v44, v34
	v_fmac_f32_e32 v44, 0x3f5db3d7, v43
	v_fmac_f32_e32 v34, 0xbf5db3d7, v43
	v_add_f32_e32 v43, v35, v45
	v_add_f32_e32 v45, v45, v48
	v_mul_f32_e32 v26, v47, v13
	v_mul_f32_e32 v115, v46, v13
	v_fmac_f32_e32 v35, -0.5, v45
	v_fma_f32 v114, v46, v12, -v26
	v_fmac_f32_e32 v115, v47, v12
	v_sub_f32_e32 v46, v49, v77
	v_mov_b32_e32 v45, v35
	v_add_f32_e32 v47, v61, v72
	v_fmac_f32_e32 v45, 0xbf5db3d7, v46
	v_fmac_f32_e32 v35, 0x3f5db3d7, v46
	v_add_f32_e32 v46, v28, v61
	v_fma_f32 v28, -0.5, v47, v28
	v_add_f32_e32 v43, v43, v48
	v_sub_f32_e32 v47, v63, v73
	v_mov_b32_e32 v48, v28
	v_add_f32_e32 v49, v63, v73
	v_mul_f32_e32 v79, v50, v11
	v_fmac_f32_e32 v48, 0x3f5db3d7, v47
	v_fmac_f32_e32 v28, 0xbf5db3d7, v47
	v_add_f32_e32 v47, v29, v63
	v_fma_f32 v29, -0.5, v49, v29
	v_fmac_f32_e32 v79, v51, v10
	v_mul_f32_e32 v26, v57, v15
	v_sub_f32_e32 v50, v61, v72
	v_mov_b32_e32 v49, v29
	v_add_f32_e32 v51, v74, v76
	v_fma_f32 v116, v56, v14, -v26
	v_mul_f32_e32 v26, v53, v1
	v_mul_f32_e32 v27, v52, v1
	v_fmac_f32_e32 v49, 0xbf5db3d7, v50
	v_fmac_f32_e32 v29, 0x3f5db3d7, v50
	v_add_f32_e32 v50, v30, v74
	v_fma_f32 v30, -0.5, v51, v30
	v_fma_f32 v26, v52, v0, -v26
	v_fmac_f32_e32 v27, v53, v0
	v_sub_f32_e32 v51, v75, v79
	v_mov_b32_e32 v52, v30
	v_add_f32_e32 v53, v75, v79
	v_mul_f32_e32 v117, v56, v15
	v_fmac_f32_e32 v52, 0x3f5db3d7, v51
	v_fmac_f32_e32 v30, 0xbf5db3d7, v51
	v_add_f32_e32 v51, v31, v75
	v_fmac_f32_e32 v31, -0.5, v53
	v_fmac_f32_e32 v117, v57, v14
	v_sub_f32_e32 v56, v74, v76
	v_mov_b32_e32 v53, v31
	v_add_f32_e32 v57, v114, v116
	v_mul_f32_e32 v36, v59, v3
	v_mul_f32_e32 v37, v58, v3
	v_fmac_f32_e32 v53, 0xbf5db3d7, v56
	v_fmac_f32_e32 v31, 0x3f5db3d7, v56
	v_add_f32_e32 v56, v24, v114
	v_fma_f32 v24, -0.5, v57, v24
	v_fma_f32 v36, v58, v2, -v36
	v_fmac_f32_e32 v37, v59, v2
	v_sub_f32_e32 v57, v115, v117
	v_mov_b32_e32 v58, v24
	v_add_f32_e32 v59, v115, v117
	v_fmac_f32_e32 v58, 0x3f5db3d7, v57
	v_fmac_f32_e32 v24, 0xbf5db3d7, v57
	v_add_f32_e32 v57, v25, v115
	v_fmac_f32_e32 v25, -0.5, v59
	v_sub_f32_e32 v61, v114, v116
	v_mov_b32_e32 v59, v25
	v_fmac_f32_e32 v59, 0xbf5db3d7, v61
	v_fmac_f32_e32 v25, 0x3f5db3d7, v61
	v_add_f32_e32 v61, v26, v36
	v_add_f32_e32 v39, v39, v113
	v_fma_f32 v113, -0.5, v61, v54
	v_sub_f32_e32 v61, v27, v37
	v_mov_b32_e32 v119, v113
	v_fmac_f32_e32 v119, 0x3f5db3d7, v61
	v_fmac_f32_e32 v113, 0xbf5db3d7, v61
	v_add_f32_e32 v61, v27, v37
	v_fma_f32 v114, -0.5, v61, v55
	v_sub_f32_e32 v61, v26, v36
	v_mov_b32_e32 v120, v114
	v_fmac_f32_e32 v120, 0xbf5db3d7, v61
	v_fmac_f32_e32 v114, 0x3f5db3d7, v61
	v_mov_b32_e32 v61, 0xcc
	v_cndmask_b32_e32 v61, 0, v61, vcc
	v_add_lshl_u32 v153, v62, v61, 3
	ds_write2_b64 v153, v[38:39], v[40:41] offset1:68
	ds_write_b64 v153, v[32:33] offset:1088
	v_mul_u32_u24_e32 v32, 0xcc, v68
	v_add_lshl_u32 v154, v32, v69, 3
	v_mad_legacy_u16 v32, v64, s16, v65
	v_add_f32_e32 v42, v42, v77
	v_add_f32_e32 v46, v46, v72
	;; [unrolled: 1-line block ×3, first 2 shown]
	v_lshlrev_b32_e32 v155, 3, v32
	ds_write2_b64 v154, v[42:43], v[44:45] offset1:68
	ds_write_b64 v154, v[34:35] offset:1088
	ds_write2_b64 v155, v[46:47], v[48:49] offset1:68
	ds_write_b64 v155, v[28:29] offset:1088
	v_mad_legacy_u16 v28, v66, s16, v67
	v_lshlrev_b32_e32 v156, 3, v28
	v_mad_legacy_u16 v28, v70, s16, v71
	v_add_f32_e32 v50, v50, v76
	v_add_f32_e32 v51, v51, v79
	;; [unrolled: 1-line block ×4, first 2 shown]
	v_lshlrev_b32_e32 v157, 3, v28
	ds_write2_b64 v156, v[50:51], v[52:53] offset1:68
	ds_write_b64 v156, v[30:31] offset:1088
	ds_write2_b64 v157, v[56:57], v[58:59] offset1:68
	ds_write_b64 v157, v[24:25] offset:1088
	s_and_saveexec_b64 s[10:11], s[2:3]
	s_cbranch_execz .LBB0_11
; %bb.10:
	v_add_f32_e32 v24, v55, v27
	v_add_f32_e32 v25, v24, v37
	;; [unrolled: 1-line block ×4, first 2 shown]
	v_add_u32_e32 v26, 0x2800, v152
	ds_write2_b64 v26, v[24:25], v[119:120] offset0:148 offset1:216
	ds_write_b64 v152, v[113:114] offset:12512
.LBB0_11:
	s_or_b64 exec, exec, s[10:11]
	v_mad_u64_u32 v[36:37], s[8:9], v134, 56, s[8:9]
	s_movk_i32 s16, 0x1000
	s_movk_i32 s8, 0x1c28
	v_add_co_u32_e32 v38, vcc, s16, v36
	v_addc_co_u32_e32 v39, vcc, 0, v37, vcc
	v_add_co_u32_e32 v48, vcc, s8, v36
	s_waitcnt lgkmcnt(0)
	s_barrier
	global_load_dwordx4 v[32:35], v[36:37], off offset:1496
	global_load_dwordx4 v[28:31], v[36:37], off offset:1512
	;; [unrolled: 1-line block ×3, first 2 shown]
	global_load_dwordx2 v[115:116], v[36:37], off offset:1544
	global_load_dwordx4 v[44:47], v[38:39], off offset:3112
	v_addc_co_u32_e32 v49, vcc, 0, v37, vcc
	global_load_dwordx4 v[40:43], v[48:49], off offset:16
	global_load_dwordx4 v[36:39], v[48:49], off offset:32
	global_load_dwordx2 v[117:118], v[48:49], off offset:48
	v_add_u32_e32 v125, 0x400, v135
	ds_read2_b64 v[62:65], v135 offset1:102
	v_add_u32_e32 v126, 0x800, v135
	v_add_u32_e32 v127, 0x1000, v135
	;; [unrolled: 1-line block ×6, first 2 shown]
	ds_read2_b64 v[48:51], v125 offset0:76 offset1:178
	ds_read2_b64 v[52:55], v126 offset0:152 offset1:254
	;; [unrolled: 1-line block ×7, first 2 shown]
	s_waitcnt vmcnt(7) lgkmcnt(5)
	v_mul_f32_e32 v79, v52, v35
	s_waitcnt vmcnt(6) lgkmcnt(3)
	v_mul_f32_e32 v159, v67, v31
	v_mul_f32_e32 v60, v49, v33
	;; [unrolled: 1-line block ×6, first 2 shown]
	s_waitcnt vmcnt(4) lgkmcnt(0)
	v_mul_f32_e32 v165, v122, v116
	v_mul_f32_e32 v166, v121, v116
	v_fmac_f32_e32 v79, v53, v34
	v_fma_f32 v53, v66, v30, -v159
	s_waitcnt vmcnt(3)
	v_mul_f32_e32 v66, v51, v45
	v_mul_f32_e32 v158, v56, v29
	;; [unrolled: 1-line block ×6, first 2 shown]
	v_fma_f32 v48, v48, v32, -v60
	v_fmac_f32_e32 v61, v49, v32
	v_fma_f32 v49, v52, v34, -v78
	v_fma_f32 v52, v56, v28, -v132
	v_fmac_f32_e32 v160, v67, v30
	v_fma_f32 v60, v121, v115, -v165
	v_fmac_f32_e32 v166, v122, v115
	v_mul_f32_e32 v67, v50, v45
	s_waitcnt vmcnt(2)
	v_mul_f32_e32 v121, v68, v43
	s_waitcnt vmcnt(1)
	v_mul_f32_e32 v122, v73, v37
	v_mul_f32_e32 v132, v72, v37
	v_mul_f32_e32 v159, v77, v39
	v_fma_f32 v66, v50, v44, -v66
	s_waitcnt vmcnt(0)
	v_mul_f32_e32 v50, v124, v118
	v_fmac_f32_e32 v158, v57, v28
	v_fma_f32 v56, v70, v24, -v161
	v_fmac_f32_e32 v162, v71, v24
	v_fma_f32 v57, v74, v26, -v163
	v_fmac_f32_e32 v164, v75, v26
	v_mul_f32_e32 v71, v54, v47
	v_mul_f32_e32 v75, v58, v41
	;; [unrolled: 1-line block ×3, first 2 shown]
	v_fmac_f32_e32 v121, v69, v42
	v_fma_f32 v69, v72, v36, -v122
	v_fmac_f32_e32 v132, v73, v36
	v_fma_f32 v72, v76, v38, -v159
	v_mul_f32_e32 v73, v76, v39
	v_fma_f32 v76, v123, v117, -v50
	v_sub_f32_e32 v50, v62, v53
	v_mul_f32_e32 v70, v55, v47
	v_mul_f32_e32 v74, v59, v41
	v_fmac_f32_e32 v67, v51, v44
	v_fmac_f32_e32 v71, v55, v46
	;; [unrolled: 1-line block ×3, first 2 shown]
	v_sub_f32_e32 v51, v63, v160
	v_fma_f32 v53, v62, 2.0, -v50
	v_sub_f32_e32 v55, v49, v57
	v_sub_f32_e32 v57, v79, v164
	;; [unrolled: 1-line block ×6, first 2 shown]
	v_fma_f32 v70, v54, v46, -v70
	v_fma_f32 v74, v58, v40, -v74
	v_fma_f32 v54, v63, 2.0, -v51
	v_fma_f32 v49, v49, 2.0, -v55
	;; [unrolled: 1-line block ×7, first 2 shown]
	v_fma_f32 v68, v68, v42, -v78
	v_fmac_f32_e32 v73, v77, v38
	v_mul_f32_e32 v77, v123, v118
	v_sub_f32_e32 v78, v53, v49
	v_sub_f32_e32 v58, v54, v58
	;; [unrolled: 1-line block ×3, first 2 shown]
	v_add_f32_e32 v122, v51, v55
	v_sub_f32_e32 v57, v48, v52
	v_sub_f32_e32 v63, v61, v63
	v_fmac_f32_e32 v77, v124, v117
	v_fma_f32 v49, v53, 2.0, -v78
	v_fma_f32 v54, v54, 2.0, -v58
	;; [unrolled: 1-line block ×5, first 2 shown]
	v_add_f32_e32 v124, v59, v60
	v_fma_f32 v50, v50, 2.0, -v79
	v_sub_f32_e32 v123, v56, v62
	v_fma_f32 v59, v59, 2.0, -v124
	v_sub_f32_e32 v52, v49, v48
	v_sub_f32_e32 v53, v54, v53
	v_mov_b32_e32 v55, v51
	v_mov_b32_e32 v62, v79
	v_fma_f32 v56, v56, 2.0, -v123
	v_fma_f32 v48, v49, 2.0, -v52
	;; [unrolled: 1-line block ×3, first 2 shown]
	v_mov_b32_e32 v54, v50
	v_fmac_f32_e32 v55, 0xbf3504f3, v59
	v_sub_f32_e32 v60, v78, v63
	v_fmac_f32_e32 v62, 0x3f3504f3, v123
	v_mov_b32_e32 v63, v122
	v_fmac_f32_e32 v54, 0xbf3504f3, v56
	v_fmac_f32_e32 v55, 0x3f3504f3, v56
	v_add_f32_e32 v61, v58, v57
	v_fma_f32 v56, v78, 2.0, -v60
	v_fmac_f32_e32 v63, 0x3f3504f3, v124
	v_fmac_f32_e32 v62, 0xbf3504f3, v124
	v_sub_f32_e32 v68, v64, v68
	v_sub_f32_e32 v78, v65, v121
	;; [unrolled: 1-line block ×4, first 2 shown]
	v_fma_f32 v57, v58, 2.0, -v61
	v_fmac_f32_e32 v63, 0x3f3504f3, v123
	v_fma_f32 v58, v79, 2.0, -v62
	v_sub_f32_e32 v69, v66, v69
	v_sub_f32_e32 v79, v67, v132
	;; [unrolled: 1-line block ×5, first 2 shown]
	v_add_f32_e32 v124, v78, v72
	v_fma_f32 v64, v64, 2.0, -v68
	v_fma_f32 v65, v65, 2.0, -v78
	;; [unrolled: 1-line block ×10, first 2 shown]
	v_sub_f32_e32 v132, v69, v77
	v_add_f32_e32 v158, v79, v76
	v_fmac_f32_e32 v54, 0xbf3504f3, v59
	v_fma_f32 v59, v122, 2.0, -v63
	v_sub_f32_e32 v121, v64, v70
	v_sub_f32_e32 v122, v65, v71
	v_sub_f32_e32 v74, v66, v74
	v_sub_f32_e32 v75, v67, v75
	v_fma_f32 v76, v69, 2.0, -v132
	v_fma_f32 v77, v79, 2.0, -v158
	v_mov_b32_e32 v70, v72
	v_mov_b32_e32 v71, v73
	;; [unrolled: 1-line block ×4, first 2 shown]
	v_fma_f32 v64, v64, 2.0, -v121
	v_fma_f32 v65, v65, 2.0, -v122
	;; [unrolled: 1-line block ×4, first 2 shown]
	v_fmac_f32_e32 v70, 0xbf3504f3, v76
	v_fmac_f32_e32 v71, 0xbf3504f3, v77
	;; [unrolled: 1-line block ×4, first 2 shown]
	v_sub_f32_e32 v68, v64, v66
	v_sub_f32_e32 v69, v65, v67
	v_fmac_f32_e32 v70, 0xbf3504f3, v77
	v_fmac_f32_e32 v71, 0x3f3504f3, v76
	v_sub_f32_e32 v76, v121, v75
	v_add_f32_e32 v77, v122, v74
	v_fmac_f32_e32 v78, 0xbf3504f3, v158
	v_fmac_f32_e32 v79, 0x3f3504f3, v132
	v_fma_f32 v50, v50, 2.0, -v54
	v_fma_f32 v51, v51, 2.0, -v55
	;; [unrolled: 1-line block ×10, first 2 shown]
	ds_write2_b64 v135, v[48:49], v[64:65] offset1:102
	ds_write2_b64 v125, v[50:51], v[66:67] offset0:76 offset1:178
	ds_write2_b64 v126, v[56:57], v[72:73] offset0:152 offset1:254
	;; [unrolled: 1-line block ×7, first 2 shown]
	s_waitcnt lgkmcnt(0)
	s_barrier
	s_and_saveexec_b64 s[8:9], s[0:1]
	s_cbranch_execz .LBB0_13
; %bb.12:
	s_add_u32 s10, s12, 0x3300
	s_addc_u32 s11, s13, 0
	global_load_dwordx2 v[121:122], v149, s[10:11]
	v_mov_b32_e32 v123, s11
	v_add_co_u32_e32 v125, vcc, s10, v149
	v_addc_co_u32_e32 v126, vcc, 0, v123, vcc
	v_add_co_u32_e32 v123, vcc, s16, v125
	v_addc_co_u32_e32 v124, vcc, 0, v126, vcc
	global_load_dwordx2 v[166:167], v149, s[10:11] offset:768
	global_load_dwordx2 v[168:169], v149, s[10:11] offset:1536
	;; [unrolled: 1-line block ×5, first 2 shown]
	global_load_dwordx2 v[176:177], v[123:124], off offset:512
	global_load_dwordx2 v[178:179], v[123:124], off offset:1280
	v_or_b32_e32 v127, 0x1800, v149
	global_load_dwordx2 v[180:181], v127, s[10:11]
	global_load_dwordx2 v[182:183], v[123:124], off offset:2816
	global_load_dwordx2 v[184:185], v[123:124], off offset:3584
	s_movk_i32 s16, 0x2000
	v_add_co_u32_e32 v123, vcc, s16, v125
	v_addc_co_u32_e32 v124, vcc, 0, v126, vcc
	global_load_dwordx2 v[186:187], v[123:124], off offset:256
	v_or_b32_e32 v125, 0x2400, v149
	global_load_dwordx2 v[188:189], v125, s[10:11]
	global_load_dwordx2 v[190:191], v[123:124], off offset:1792
	global_load_dwordx2 v[192:193], v[123:124], off offset:2560
	v_or_b32_e32 v127, 0x3000, v149
	ds_read_b64 v[125:126], v135
	global_load_dwordx2 v[194:195], v127, s[10:11]
	global_load_dwordx2 v[196:197], v[123:124], off offset:3328
	v_add_u32_e32 v200, 0x800, v149
	v_add_u32_e32 v201, 0xc00, v149
	;; [unrolled: 1-line block ×5, first 2 shown]
	s_waitcnt vmcnt(16) lgkmcnt(0)
	v_mul_f32_e32 v124, v126, v122
	v_mul_f32_e32 v123, v125, v122
	v_fma_f32 v122, v125, v121, -v124
	v_fmac_f32_e32 v123, v126, v121
	ds_write_b64 v135, v[122:123]
	ds_read2_b64 v[121:124], v149 offset0:96 offset1:192
	ds_read2_b64 v[125:128], v200 offset0:32 offset1:128
	;; [unrolled: 1-line block ×5, first 2 shown]
	s_waitcnt vmcnt(15) lgkmcnt(4)
	v_mul_f32_e32 v198, v122, v167
	v_mul_f32_e32 v199, v121, v167
	s_waitcnt vmcnt(14)
	v_mul_f32_e32 v205, v124, v169
	v_mul_f32_e32 v167, v123, v169
	s_waitcnt vmcnt(13) lgkmcnt(3)
	v_mul_f32_e32 v206, v126, v171
	v_mul_f32_e32 v169, v125, v171
	s_waitcnt vmcnt(12)
	v_mul_f32_e32 v207, v128, v173
	v_mul_f32_e32 v171, v127, v173
	;; [unrolled: 6-line block ×4, first 2 shown]
	v_fma_f32 v198, v121, v166, -v198
	v_fmac_f32_e32 v199, v122, v166
	v_fma_f32 v166, v123, v168, -v205
	v_fmac_f32_e32 v167, v124, v168
	;; [unrolled: 2-line block ×8, first 2 shown]
	ds_write2_b64 v149, v[198:199], v[166:167] offset0:96 offset1:192
	ds_write2_b64 v200, v[168:169], v[170:171] offset0:32 offset1:128
	;; [unrolled: 1-line block ×4, first 2 shown]
	ds_read2_b64 v[121:124], v204 offset0:32 offset1:128
	s_waitcnt vmcnt(7) lgkmcnt(5)
	v_mul_f32_e32 v212, v163, v183
	v_mul_f32_e32 v181, v162, v183
	s_waitcnt vmcnt(6)
	v_mul_f32_e32 v183, v165, v185
	v_mul_f32_e32 v126, v164, v185
	v_fma_f32 v180, v162, v182, -v212
	v_fmac_f32_e32 v181, v163, v182
	v_fma_f32 v125, v164, v184, -v183
	v_fmac_f32_e32 v126, v165, v184
	ds_write2_b64 v203, v[180:181], v[125:126] offset0:96 offset1:192
	s_waitcnt vmcnt(5) lgkmcnt(1)
	v_mul_f32_e32 v125, v122, v187
	v_add_u32_e32 v131, 0x2400, v149
	v_fma_f32 v129, v121, v186, -v125
	ds_read2_b64 v[125:128], v131 offset0:96 offset1:192
	v_mul_f32_e32 v130, v121, v187
	v_fmac_f32_e32 v130, v122, v186
	s_waitcnt vmcnt(4)
	v_mul_f32_e32 v121, v124, v189
	v_mul_f32_e32 v122, v123, v189
	v_fma_f32 v121, v123, v188, -v121
	v_fmac_f32_e32 v122, v124, v188
	ds_write2_b64 v204, v[129:130], v[121:122] offset0:32 offset1:128
	s_waitcnt vmcnt(3) lgkmcnt(1)
	v_mul_f32_e32 v121, v126, v191
	v_add_u32_e32 v132, 0x2c00, v149
	v_fma_f32 v129, v125, v190, -v121
	ds_read2_b64 v[121:124], v132 offset0:32 offset1:128
	v_mul_f32_e32 v130, v125, v191
	v_fmac_f32_e32 v130, v126, v190
	s_waitcnt vmcnt(2)
	v_mul_f32_e32 v125, v128, v193
	v_mul_f32_e32 v126, v127, v193
	v_fma_f32 v125, v127, v192, -v125
	v_fmac_f32_e32 v126, v128, v192
	ds_write2_b64 v131, v[129:130], v[125:126] offset0:96 offset1:192
	s_waitcnt vmcnt(0) lgkmcnt(1)
	v_mul_f32_e32 v125, v122, v197
	v_mul_f32_e32 v126, v121, v197
	v_fma_f32 v125, v121, v196, -v125
	v_fmac_f32_e32 v126, v122, v196
	v_mul_f32_e32 v121, v124, v195
	v_mul_f32_e32 v122, v123, v195
	v_fma_f32 v121, v123, v194, -v121
	v_fmac_f32_e32 v122, v124, v194
	ds_write2_b64 v132, v[125:126], v[121:122] offset0:32 offset1:128
.LBB0_13:
	s_or_b64 exec, exec, s[8:9]
	s_waitcnt lgkmcnt(0)
	s_barrier
	s_and_saveexec_b64 s[8:9], s[0:1]
	s_cbranch_execz .LBB0_15
; %bb.14:
	v_add_u32_e32 v52, 0x400, v135
	v_add_u32_e32 v68, 0x1c00, v135
	ds_read2_b64 v[56:59], v52 offset0:64 offset1:160
	v_add_u32_e32 v52, 0x800, v135
	v_add_u32_e32 v60, 0x1000, v135
	;; [unrolled: 1-line block ×3, first 2 shown]
	ds_read2_b64 v[72:75], v68 offset0:64 offset1:160
	v_add_u32_e32 v68, 0x2000, v135
	v_add_u32_e32 v76, 0x2800, v135
	ds_read2_b64 v[48:51], v135 offset1:96
	ds_read2_b64 v[52:55], v52 offset0:128 offset1:224
	ds_read2_b64 v[60:63], v60 offset0:64 offset1:160
	ds_read2_b64 v[64:67], v64 offset1:96
	ds_read2_b64 v[68:71], v68 offset0:128 offset1:224
	ds_read2_b64 v[76:79], v76 offset0:64 offset1:160
	ds_read_b64 v[119:120], v135 offset:12288
.LBB0_15:
	s_or_b64 exec, exec, s[8:9]
	s_waitcnt lgkmcnt(0)
	v_sub_f32_e32 v182, v51, v120
	v_add_f32_e32 v158, v119, v50
	v_add_f32_e32 v192, v120, v51
	s_mov_b32 s10, 0x3f6eb680
	v_mul_f32_e32 v80, 0xbeb8f4ab, v182
	v_sub_f32_e32 v185, v57, v79
	v_mul_f32_e32 v125, 0x3f6eb680, v192
	v_fma_f32 v121, v158, s10, -v80
	v_add_f32_e32 v159, v78, v56
	v_add_f32_e32 v195, v79, v57
	s_mov_b32 s11, 0x3f3d2fb0
	v_mul_f32_e32 v124, 0xbf2c7751, v185
	v_sub_f32_e32 v161, v50, v119
	v_add_f32_e32 v121, v48, v121
	v_mov_b32_e32 v122, v125
	v_mul_f32_e32 v127, 0x3f3d2fb0, v195
	v_fma_f32 v123, v159, s11, -v124
	v_fmac_f32_e32 v122, 0xbeb8f4ab, v161
	v_sub_f32_e32 v163, v56, v78
	v_add_f32_e32 v121, v123, v121
	v_mov_b32_e32 v123, v127
	v_sub_f32_e32 v188, v59, v77
	v_add_f32_e32 v122, v49, v122
	v_fmac_f32_e32 v123, 0xbf2c7751, v163
	v_add_f32_e32 v160, v76, v58
	v_add_f32_e32 v198, v77, v59
	s_mov_b32 s16, 0x3ee437d1
	v_mul_f32_e32 v126, 0xbf65296c, v188
	v_add_f32_e32 v122, v123, v122
	v_mul_f32_e32 v129, 0x3ee437d1, v198
	v_fma_f32 v123, v160, s16, -v126
	v_sub_f32_e32 v165, v58, v76
	v_add_f32_e32 v121, v123, v121
	v_mov_b32_e32 v123, v129
	v_sub_f32_e32 v190, v53, v71
	v_fmac_f32_e32 v123, 0xbf65296c, v165
	v_add_f32_e32 v162, v70, v52
	v_add_f32_e32 v203, v71, v53
	s_mov_b32 s17, 0x3dbcf732
	v_mul_f32_e32 v128, 0xbf7ee86f, v190
	v_add_f32_e32 v122, v123, v122
	v_mul_f32_e32 v131, 0x3dbcf732, v203
	v_fma_f32 v123, v162, s17, -v128
	v_sub_f32_e32 v167, v52, v70
	v_add_f32_e32 v121, v123, v121
	v_mov_b32_e32 v123, v131
	v_sub_f32_e32 v194, v55, v69
	v_fmac_f32_e32 v123, 0xbf7ee86f, v167
	v_add_f32_e32 v164, v68, v54
	v_add_f32_e32 v210, v69, v55
	s_mov_b32 s18, 0xbe8c1d8e
	v_mul_f32_e32 v130, 0xbf763a35, v194
	v_add_f32_e32 v122, v123, v122
	v_mul_f32_e32 v172, 0xbe8c1d8e, v210
	v_fma_f32 v123, v164, s18, -v130
	v_sub_f32_e32 v169, v54, v68
	v_add_f32_e32 v121, v123, v121
	v_mov_b32_e32 v123, v172
	v_sub_f32_e32 v196, v61, v75
	v_fmac_f32_e32 v123, 0xbf763a35, v169
	v_add_f32_e32 v166, v74, v60
	v_add_f32_e32 v211, v75, v61
	s_mov_b32 s19, 0xbf1a4643
	v_mul_f32_e32 v132, 0xbf4c4adb, v196
	v_add_f32_e32 v122, v123, v122
	v_mul_f32_e32 v176, 0xbf1a4643, v211
	v_fma_f32 v123, v166, s19, -v132
	v_sub_f32_e32 v170, v60, v74
	v_add_f32_e32 v121, v123, v121
	v_mov_b32_e32 v123, v176
	v_sub_f32_e32 v199, v63, v73
	v_fmac_f32_e32 v123, 0xbf4c4adb, v170
	v_add_f32_e32 v168, v72, v62
	v_add_f32_e32 v220, v73, v63
	s_mov_b32 s20, 0xbf59a7d5
	v_mul_f32_e32 v174, 0xbf06c442, v199
	v_add_f32_e32 v122, v123, v122
	v_mul_f32_e32 v193, 0xbf59a7d5, v220
	v_fma_f32 v123, v168, s20, -v174
	v_sub_f32_e32 v173, v62, v72
	v_add_f32_e32 v121, v123, v121
	v_mov_b32_e32 v123, v193
	v_sub_f32_e32 v209, v65, v67
	v_fmac_f32_e32 v123, 0xbf06c442, v173
	v_add_f32_e32 v171, v66, v64
	v_add_f32_e32 v221, v67, v65
	s_mov_b32 s21, 0xbf7ba420
	v_mul_f32_e32 v177, 0xbe3c28d5, v209
	v_add_f32_e32 v122, v123, v122
	v_mul_f32_e32 v197, 0xbf7ba420, v221
	v_fma_f32 v123, v171, s21, -v177
	v_sub_f32_e32 v175, v64, v66
	v_add_f32_e32 v121, v123, v121
	v_mov_b32_e32 v123, v197
	v_fmac_f32_e32 v123, 0xbe3c28d5, v175
	v_add_f32_e32 v122, v123, v122
	s_barrier
	s_and_saveexec_b64 s[8:9], s[0:1]
	s_cbranch_execz .LBB0_17
; %bb.16:
	v_mul_f32_e32 v123, 0xbf65296c, v161
	v_mul_f32_e32 v178, 0xbf4c4adb, v163
	v_fmac_f32_e32 v123, 0x3ee437d1, v192
	buffer_store_dword v124, off, s[24:27], 0 offset:84 ; 4-byte Folded Spill
	v_mov_b32_e32 v124, v178
	v_add_f32_e32 v123, v49, v123
	v_fmac_f32_e32 v124, 0xbf1a4643, v195
	v_add_f32_e32 v123, v124, v123
	v_mul_f32_e32 v124, 0x3e3c28d5, v165
	v_fmac_f32_e32 v124, 0xbf7ba420, v198
	v_add_f32_e32 v123, v124, v123
	v_mul_f32_e32 v124, 0x3f763a35, v167
	;; [unrolled: 3-line block ×6, first 2 shown]
	v_fmac_f32_e32 v124, 0xbf59a7d5, v221
	v_mul_f32_e32 v230, 0xbf65296c, v182
	v_add_f32_e32 v124, v124, v123
	v_fma_f32 v123, v158, s16, -v230
	v_mul_f32_e32 v231, 0xbf4c4adb, v185
	v_add_f32_e32 v123, v48, v123
	buffer_store_dword v125, off, s[24:27], 0 offset:96 ; 4-byte Folded Spill
	v_fma_f32 v125, v159, s19, -v231
	v_mul_f32_e32 v232, 0x3e3c28d5, v188
	v_add_f32_e32 v123, v125, v123
	v_fma_f32 v125, v160, s21, -v232
	v_mul_f32_e32 v233, 0x3f763a35, v190
	v_add_f32_e32 v123, v125, v123
	;; [unrolled: 3-line block ×6, first 2 shown]
	v_fma_f32 v125, v171, s20, -v237
	v_add_f32_e32 v123, v125, v123
	buffer_store_dword v123, off, s[24:27], 0 offset:68 ; 4-byte Folded Spill
	s_nop 0
	buffer_store_dword v124, off, s[24:27], 0 offset:72 ; 4-byte Folded Spill
	v_mul_f32_e32 v125, 0xbf7ee86f, v161
	v_mul_f32_e32 v123, 0xbe3c28d5, v163
	v_fmac_f32_e32 v125, 0x3dbcf732, v192
	buffer_store_dword v126, off, s[24:27], 0 offset:100 ; 4-byte Folded Spill
	v_mov_b32_e32 v126, v123
	v_add_f32_e32 v125, v49, v125
	v_fmac_f32_e32 v126, 0xbf7ba420, v195
	v_add_f32_e32 v125, v126, v125
	v_mul_f32_e32 v126, 0x3f763a35, v165
	v_fmac_f32_e32 v126, 0xbe8c1d8e, v198
	v_add_f32_e32 v125, v126, v125
	v_mul_f32_e32 v126, 0x3eb8f4ab, v167
	v_fmac_f32_e32 v126, 0x3f6eb680, v203
	v_mul_f32_e32 v249, 0xbf65296c, v169
	v_add_f32_e32 v125, v126, v125
	v_mov_b32_e32 v126, v249
	v_fmac_f32_e32 v126, 0x3ee437d1, v210
	v_mul_f32_e32 v248, 0xbf06c442, v170
	v_add_f32_e32 v125, v126, v125
	v_mov_b32_e32 v126, v248
	;; [unrolled: 4-line block ×4, first 2 shown]
	v_fmac_f32_e32 v126, 0x3f3d2fb0, v221
	buffer_store_dword v136, off, s[24:27], 0 offset:4 ; 4-byte Folded Spill
	v_mul_f32_e32 v136, 0xbf7ee86f, v182
	v_add_f32_e32 v124, v126, v125
	v_fma_f32 v125, v158, s17, -v136
	buffer_store_dword v137, off, s[24:27], 0 offset:8 ; 4-byte Folded Spill
	v_mul_f32_e32 v137, 0xbe3c28d5, v185
	v_add_f32_e32 v125, v48, v125
	buffer_store_dword v127, off, s[24:27], 0 offset:104 ; 4-byte Folded Spill
	v_fma_f32 v127, v159, s21, -v137
	buffer_store_dword v138, off, s[24:27], 0 offset:12 ; 4-byte Folded Spill
	v_mul_f32_e32 v138, 0x3f763a35, v188
	v_add_f32_e32 v125, v127, v125
	v_fma_f32 v127, v160, s18, -v138
	buffer_store_dword v139, off, s[24:27], 0 offset:16 ; 4-byte Folded Spill
	v_mul_f32_e32 v139, 0x3eb8f4ab, v190
	v_add_f32_e32 v125, v127, v125
	;; [unrolled: 4-line block ×6, first 2 shown]
	v_fma_f32 v127, v171, s11, -v143
	v_mul_f32_e32 v246, 0xbf763a35, v161
	v_add_f32_e32 v123, v127, v125
	v_mov_b32_e32 v127, v246
	v_mul_f32_e32 v247, 0x3f06c442, v163
	buffer_store_dword v123, off, s[24:27], 0 offset:76 ; 4-byte Folded Spill
	s_nop 0
	buffer_store_dword v124, off, s[24:27], 0 offset:80 ; 4-byte Folded Spill
	v_fmac_f32_e32 v127, 0xbe8c1d8e, v192
	buffer_store_dword v128, off, s[24:27], 0 offset:108 ; 4-byte Folded Spill
	v_mov_b32_e32 v128, v247
	v_add_f32_e32 v127, v49, v127
	v_fmac_f32_e32 v128, 0xbf59a7d5, v195
	buffer_store_dword v144, off, s[24:27], 0 offset:36 ; 4-byte Folded Spill
	v_mul_f32_e32 v144, 0x3f2c7751, v165
	v_add_f32_e32 v127, v128, v127
	v_mov_b32_e32 v128, v144
	v_fmac_f32_e32 v128, 0x3f3d2fb0, v198
	buffer_store_dword v145, off, s[24:27], 0 offset:40 ; 4-byte Folded Spill
	v_mul_f32_e32 v145, 0xbf65296c, v167
	v_add_f32_e32 v127, v128, v127
	v_mov_b32_e32 v128, v145
	;; [unrolled: 5-line block ×5, first 2 shown]
	v_fmac_f32_e32 v128, 0x3f6eb680, v220
	v_mul_f32_e32 v123, 0xbf4c4adb, v175
	v_add_f32_e32 v127, v128, v127
	v_mov_b32_e32 v128, v123
	v_fmac_f32_e32 v128, 0xbf1a4643, v221
	buffer_store_dword v150, off, s[24:27], 0 offset:56 ; 4-byte Folded Spill
	v_mul_f32_e32 v150, 0xbf763a35, v182
	v_add_f32_e32 v125, v128, v127
	v_fma_f32 v127, v158, s18, -v150
	buffer_store_dword v151, off, s[24:27], 0 offset:60 ; 4-byte Folded Spill
	v_mul_f32_e32 v151, 0x3f06c442, v185
	v_add_f32_e32 v127, v48, v127
	buffer_store_dword v129, off, s[24:27], 0 offset:116 ; 4-byte Folded Spill
	v_fma_f32 v129, v159, s20, -v151
	buffer_store_dword v152, off, s[24:27], 0 offset:64 ; 4-byte Folded Spill
	v_mul_f32_e32 v152, 0x3f2c7751, v188
	v_add_f32_e32 v127, v129, v127
	v_fma_f32 v129, v160, s11, -v152
	buffer_store_dword v80, off, s[24:27], 0 offset:112 ; 4-byte Folded Spill
	v_mul_f32_e32 v80, 0xbf65296c, v190
	v_add_f32_e32 v127, v129, v127
	v_fma_f32 v129, v162, s16, -v80
	buffer_store_dword v133, off, s[24:27], 0 ; 4-byte Folded Spill
	v_mov_b32_e32 v133, v213
	v_mul_f32_e32 v213, 0xbe3c28d5, v194
	v_add_f32_e32 v127, v129, v127
	v_fma_f32 v129, v164, s21, -v213
	v_mul_f32_e32 v214, 0x3f7ee86f, v196
	v_add_f32_e32 v127, v129, v127
	v_fma_f32 v129, v166, s17, -v214
	;; [unrolled: 3-line block ×4, first 2 shown]
	v_mul_f32_e32 v244, 0xbf4c4adb, v161
	v_add_f32_e32 v124, v129, v127
	v_mov_b32_e32 v129, v244
	v_mul_f32_e32 v245, 0x3f763a35, v163
	buffer_store_dword v124, off, s[24:27], 0 offset:88 ; 4-byte Folded Spill
	s_nop 0
	buffer_store_dword v125, off, s[24:27], 0 offset:92 ; 4-byte Folded Spill
	v_fmac_f32_e32 v129, 0xbf1a4643, v192
	buffer_store_dword v130, off, s[24:27], 0 offset:120 ; 4-byte Folded Spill
	v_mov_b32_e32 v130, v245
	v_add_f32_e32 v129, v49, v129
	v_fmac_f32_e32 v130, 0xbe8c1d8e, v195
	v_mul_f32_e32 v217, 0xbeb8f4ab, v165
	v_add_f32_e32 v129, v130, v129
	v_mov_b32_e32 v130, v217
	v_fmac_f32_e32 v130, 0x3f6eb680, v198
	v_mul_f32_e32 v218, 0xbf06c442, v167
	v_add_f32_e32 v129, v130, v129
	v_mov_b32_e32 v130, v218
	v_fmac_f32_e32 v130, 0xbf59a7d5, v203
	v_mov_b32_e32 v127, v153
	v_mul_f32_e32 v153, 0x3f7ee86f, v169
	v_add_f32_e32 v129, v130, v129
	v_mov_b32_e32 v130, v153
	v_fmac_f32_e32 v130, 0x3dbcf732, v210
	v_mul_f32_e32 v219, 0xbf2c7751, v170
	v_add_f32_e32 v129, v130, v129
	v_mov_b32_e32 v130, v219
	v_fmac_f32_e32 v130, 0x3f3d2fb0, v211
	v_mov_b32_e32 v128, v154
	v_mul_f32_e32 v154, 0xbe3c28d5, v173
	v_add_f32_e32 v129, v130, v129
	v_mov_b32_e32 v130, v154
	v_fmac_f32_e32 v130, 0xbf7ba420, v220
	v_mov_b32_e32 v186, v155
	;; [unrolled: 5-line block ×3, first 2 shown]
	v_mul_f32_e32 v156, 0xbf4c4adb, v182
	v_add_f32_e32 v130, v130, v129
	v_fma_f32 v129, v158, s19, -v156
	v_mov_b32_e32 v189, v157
	v_mul_f32_e32 v157, 0x3f763a35, v185
	v_add_f32_e32 v129, v48, v129
	buffer_store_dword v131, off, s[24:27], 0 offset:124 ; 4-byte Folded Spill
	v_fma_f32 v131, v159, s18, -v157
	buffer_store_dword v172, off, s[24:27], 0 offset:128 ; 4-byte Folded Spill
	v_mul_f32_e32 v172, 0xbeb8f4ab, v188
	v_add_f32_e32 v129, v131, v129
	v_fma_f32 v131, v160, s10, -v172
	v_mul_f32_e32 v208, 0xbf06c442, v190
	v_add_f32_e32 v129, v131, v129
	v_fma_f32 v131, v162, s20, -v208
	;; [unrolled: 3-line block ×6, first 2 shown]
	v_mul_f32_e32 v242, 0xbf06c442, v161
	v_add_f32_e32 v129, v131, v129
	v_mov_b32_e32 v131, v242
	v_mul_f32_e32 v243, 0x3f65296c, v163
	v_fmac_f32_e32 v131, 0xbf59a7d5, v192
	buffer_store_dword v132, off, s[24:27], 0 offset:132 ; 4-byte Folded Spill
	v_mov_b32_e32 v132, v243
	v_add_f32_e32 v131, v49, v131
	v_fmac_f32_e32 v132, 0x3ee437d1, v195
	v_mul_f32_e32 v205, 0xbf7ee86f, v165
	v_add_f32_e32 v131, v132, v131
	v_mov_b32_e32 v132, v205
	v_fmac_f32_e32 v132, 0x3dbcf732, v198
	v_mul_f32_e32 v206, 0x3f4c4adb, v167
	v_add_f32_e32 v131, v132, v131
	v_mov_b32_e32 v132, v206
	;; [unrolled: 4-line block ×6, first 2 shown]
	v_fmac_f32_e32 v132, 0xbe8c1d8e, v221
	v_mul_f32_e32 v226, 0xbf06c442, v182
	v_add_f32_e32 v132, v132, v131
	v_fma_f32 v131, v158, s20, -v226
	v_mul_f32_e32 v227, 0x3f65296c, v185
	v_add_f32_e32 v131, v48, v131
	v_fma_f32 v238, v159, s16, -v227
	;; [unrolled: 3-line block ×4, first 2 shown]
	buffer_store_dword v174, off, s[24:27], 0 offset:136 ; 4-byte Folded Spill
	v_mul_f32_e32 v174, 0xbeb8f4ab, v194
	v_add_f32_e32 v131, v238, v131
	v_fma_f32 v238, v164, s10, -v174
	buffer_store_dword v177, off, s[24:27], 0 offset:140 ; 4-byte Folded Spill
	v_mul_f32_e32 v177, 0xbe3c28d5, v196
	v_add_f32_e32 v131, v238, v131
	v_fma_f32 v238, v166, s21, -v177
	;; [unrolled: 4-line block ×3, first 2 shown]
	v_mul_f32_e32 v179, 0xbf763a35, v209
	v_add_f32_e32 v131, v238, v131
	v_fma_f32 v238, v171, s18, -v179
	v_mul_f32_e32 v240, 0xbe3c28d5, v161
	v_add_f32_e32 v131, v238, v131
	v_mov_b32_e32 v238, v240
	v_mul_f32_e32 v241, 0x3eb8f4ab, v163
	v_fmac_f32_e32 v238, 0xbf7ba420, v192
	v_mov_b32_e32 v239, v241
	v_add_f32_e32 v238, v49, v238
	v_fmac_f32_e32 v239, 0x3f6eb680, v195
	v_mul_f32_e32 v178, 0xbf06c442, v165
	v_add_f32_e32 v238, v239, v238
	v_mov_b32_e32 v239, v178
	v_mul_f32_e32 v181, 0x3f2c7751, v167
	v_fmac_f32_e32 v239, 0xbf59a7d5, v198
	v_mov_b32_e32 v124, v181
	v_add_f32_e32 v238, v239, v238
	v_fmac_f32_e32 v124, 0x3f3d2fb0, v203
	v_mul_f32_e32 v250, 0xbf4c4adb, v169
	v_add_f32_e32 v124, v124, v238
	v_mov_b32_e32 v238, v250
	v_fmac_f32_e32 v238, 0xbf1a4643, v210
	v_mul_f32_e32 v251, 0x3f65296c, v170
	v_add_f32_e32 v124, v238, v124
	v_mov_b32_e32 v238, v251
	;; [unrolled: 4-line block ×4, first 2 shown]
	v_fmac_f32_e32 v238, 0x3dbcf732, v221
	v_add_f32_e32 v239, v238, v124
	v_mul_f32_e32 v124, 0xbe3c28d5, v182
	v_fma_f32 v238, v158, s21, -v124
	v_mul_f32_e32 v184, 0x3eb8f4ab, v185
	v_add_f32_e32 v238, v48, v238
	v_fma_f32 v125, v159, s10, -v184
	v_mul_f32_e32 v126, 0xbf06c442, v188
	v_add_f32_e32 v125, v125, v238
	;; [unrolled: 3-line block ×7, first 2 shown]
	v_fma_f32 v238, v171, s17, -v187
	v_fmac_f32_e32 v124, 0xbf7ba420, v158
	v_add_f32_e32 v238, v238, v125
	v_fma_f32 v125, v192, s21, -v240
	v_add_f32_e32 v124, v48, v124
	v_fmac_f32_e32 v184, 0x3f6eb680, v159
	v_add_f32_e32 v125, v49, v125
	v_fma_f32 v240, v195, s10, -v241
	v_add_f32_e32 v124, v184, v124
	;; [unrolled: 4-line block ×8, first 2 shown]
	v_fma_f32 v124, v192, s20, -v242
	v_add_f32_e32 v241, v178, v125
	v_add_f32_e32 v124, v49, v124
	v_fma_f32 v125, v195, s16, -v243
	v_add_f32_e32 v124, v125, v124
	v_fma_f32 v125, v198, s17, -v205
	;; [unrolled: 2-line block ×7, first 2 shown]
	v_fmac_f32_e32 v226, 0xbf59a7d5, v158
	v_add_f32_e32 v243, v125, v124
	v_add_f32_e32 v124, v48, v226
	v_fmac_f32_e32 v227, 0x3ee437d1, v159
	v_add_f32_e32 v124, v227, v124
	v_fmac_f32_e32 v228, 0x3dbcf732, v160
	;; [unrolled: 2-line block ×7, first 2 shown]
	v_add_f32_e32 v242, v179, v124
	v_fma_f32 v124, v192, s19, -v244
	v_add_f32_e32 v124, v49, v124
	v_fma_f32 v125, v195, s18, -v245
	;; [unrolled: 2-line block ×8, first 2 shown]
	v_fmac_f32_e32 v156, 0xbf1a4643, v158
	v_add_f32_e32 v245, v125, v124
	v_add_f32_e32 v124, v48, v156
	v_fmac_f32_e32 v157, 0xbe8c1d8e, v159
	v_add_f32_e32 v124, v157, v124
	v_fmac_f32_e32 v172, 0x3f6eb680, v160
	;; [unrolled: 2-line block ×7, first 2 shown]
	v_add_f32_e32 v244, v204, v124
	v_fma_f32 v124, v192, s18, -v246
	v_add_f32_e32 v124, v49, v124
	v_fma_f32 v125, v195, s20, -v247
	;; [unrolled: 2-line block ×8, first 2 shown]
	v_fmac_f32_e32 v150, 0xbe8c1d8e, v158
	v_add_f32_e32 v247, v125, v124
	v_add_f32_e32 v124, v48, v150
	v_fmac_f32_e32 v151, 0xbf59a7d5, v159
	v_add_f32_e32 v124, v151, v124
	v_fmac_f32_e32 v152, 0x3f3d2fb0, v160
	;; [unrolled: 2-line block ×7, first 2 shown]
	v_add_f32_e32 v246, v216, v80
	v_mul_f32_e32 v80, 0xbf7ee86f, v161
	v_fma_f32 v80, v192, s17, -v80
	v_mul_f32_e32 v123, 0xbe3c28d5, v163
	v_mov_b32_e32 v154, v128
	v_add_f32_e32 v80, v49, v80
	v_fma_f32 v124, v195, s21, -v123
	v_mul_f32_e32 v123, 0x3f763a35, v165
	buffer_load_dword v128, off, s[24:27], 0 offset:96 ; 4-byte Folded Reload
	v_add_f32_e32 v80, v124, v80
	v_fma_f32 v124, v198, s18, -v123
	v_mul_f32_e32 v123, 0x3eb8f4ab, v167
	v_add_f32_e32 v80, v124, v80
	v_fma_f32 v124, v203, s10, -v123
	v_add_f32_e32 v80, v124, v80
	v_fma_f32 v124, v210, s16, -v249
	;; [unrolled: 2-line block ×5, first 2 shown]
	v_fmac_f32_e32 v136, 0x3dbcf732, v158
	v_add_f32_e32 v249, v123, v80
	v_add_f32_e32 v80, v48, v136
	v_fmac_f32_e32 v137, 0xbf7ba420, v159
	v_add_f32_e32 v80, v137, v80
	v_fmac_f32_e32 v138, 0xbe8c1d8e, v160
	;; [unrolled: 2-line block ×7, first 2 shown]
	v_add_f32_e32 v248, v143, v80
	v_mul_f32_e32 v80, 0xbf65296c, v161
	v_fma_f32 v80, v192, s16, -v80
	v_mul_f32_e32 v123, 0xbf4c4adb, v163
	v_add_f32_e32 v80, v49, v80
	v_fma_f32 v123, v195, s19, -v123
	v_add_f32_e32 v80, v123, v80
	v_mul_f32_e32 v123, 0x3e3c28d5, v165
	v_fma_f32 v123, v198, s21, -v123
	v_add_f32_e32 v80, v123, v80
	v_mul_f32_e32 v123, 0x3f763a35, v167
	;; [unrolled: 3-line block ×6, first 2 shown]
	v_fma_f32 v123, v221, s20, -v123
	v_fmac_f32_e32 v230, 0x3ee437d1, v158
	v_add_f32_e32 v223, v123, v80
	v_add_f32_e32 v80, v48, v230
	v_fmac_f32_e32 v231, 0xbf1a4643, v159
	v_add_f32_e32 v80, v231, v80
	v_fmac_f32_e32 v232, 0xbf7ba420, v160
	;; [unrolled: 2-line block ×7, first 2 shown]
	v_add_f32_e32 v222, v237, v80
	v_mul_f32_e32 v80, 0x3f3d2fb0, v192
	v_mov_b32_e32 v123, v80
	v_mul_f32_e32 v124, 0x3dbcf732, v195
	v_fmac_f32_e32 v123, 0x3f2c7751, v161
	v_mov_b32_e32 v125, v124
	v_add_f32_e32 v123, v49, v123
	v_fmac_f32_e32 v125, 0x3f7ee86f, v163
	v_add_f32_e32 v123, v125, v123
	v_mul_f32_e32 v125, 0xbf1a4643, v198
	v_mov_b32_e32 v126, v125
	v_fmac_f32_e32 v126, 0x3f4c4adb, v165
	v_add_f32_e32 v123, v126, v123
	v_mul_f32_e32 v126, 0xbf7ba420, v203
	v_mov_b32_e32 v136, v126
	;; [unrolled: 4-line block ×7, first 2 shown]
	v_mul_f32_e32 v141, 0xbf7ee86f, v185
	v_fmac_f32_e32 v140, 0x3f3d2fb0, v158
	v_mov_b32_e32 v142, v141
	v_add_f32_e32 v140, v48, v140
	v_fmac_f32_e32 v142, 0x3dbcf732, v159
	v_add_f32_e32 v140, v142, v140
	v_mul_f32_e32 v142, 0xbf4c4adb, v188
	v_mov_b32_e32 v143, v142
	v_fmac_f32_e32 v143, 0xbf1a4643, v160
	v_add_f32_e32 v140, v143, v140
	v_mul_f32_e32 v143, 0xbe3c28d5, v190
	v_mov_b32_e32 v144, v143
	;; [unrolled: 4-line block ×6, first 2 shown]
	v_mov_b32_e32 v153, v127
	v_fmac_f32_e32 v148, 0x3f6eb680, v171
	v_mul_f32_e32 v127, 0xbeb8f4ab, v161
	v_add_f32_e32 v194, v148, v140
	s_waitcnt vmcnt(0)
	v_sub_f32_e32 v140, v128, v127
	buffer_load_dword v128, off, s[24:27], 0 offset:104 ; 4-byte Folded Reload
	v_mul_f32_e32 v127, 0xbf2c7751, v163
	v_add_f32_e32 v140, v49, v140
	buffer_load_dword v150, off, s[24:27], 0 offset:56 ; 4-byte Folded Reload
	buffer_load_dword v151, off, s[24:27], 0 offset:60 ; 4-byte Folded Reload
	;; [unrolled: 1-line block ×3, first 2 shown]
	v_add_f32_e32 v51, v51, v49
	v_add_f32_e32 v50, v50, v48
	;; [unrolled: 1-line block ×14, first 2 shown]
	v_fma_f32 v52, v158, s11, -v123
	v_add_f32_e32 v51, v65, v51
	v_add_f32_e32 v50, v64, v50
	;; [unrolled: 1-line block ×4, first 2 shown]
	v_fmac_f32_e32 v80, 0xbf2c7751, v161
	v_add_f32_e32 v51, v73, v51
	v_add_f32_e32 v50, v72, v50
	v_add_f32_e32 v49, v49, v80
	v_fmac_f32_e32 v124, 0xbf7ee86f, v163
	v_add_f32_e32 v51, v75, v51
	v_add_f32_e32 v50, v74, v50
	v_add_f32_e32 v49, v124, v49
	;; [unrolled: 4-line block ×7, first 2 shown]
	v_fmac_f32_e32 v139, 0x3eb8f4ab, v175
	v_mov_b32_e32 v213, v133
	v_add_f32_e32 v49, v139, v49
	v_mov_b32_e32 v155, v186
	v_mov_b32_e32 v156, v191
	;; [unrolled: 1-line block ×3, first 2 shown]
	s_waitcnt vmcnt(3)
	v_sub_f32_e32 v148, v128, v127
	buffer_load_dword v128, off, s[24:27], 0 offset:116 ; 4-byte Folded Reload
	v_mul_f32_e32 v127, 0xbf65296c, v165
	v_add_f32_e32 v140, v148, v140
	s_waitcnt vmcnt(0)
	v_sub_f32_e32 v148, v128, v127
	buffer_load_dword v128, off, s[24:27], 0 offset:124 ; 4-byte Folded Reload
	v_mul_f32_e32 v127, 0xbf7ee86f, v167
	v_add_f32_e32 v140, v148, v140
	;; [unrolled: 5-line block ×5, first 2 shown]
	v_sub_f32_e32 v148, v193, v127
	v_mul_f32_e32 v127, 0xbe3c28d5, v175
	v_add_f32_e32 v140, v148, v140
	v_sub_f32_e32 v148, v197, v127
	v_mul_f32_e32 v127, 0x3f6eb680, v158
	v_add_f32_e32 v178, v148, v140
	s_waitcnt vmcnt(0)
	v_add_f32_e32 v140, v127, v128
	buffer_load_dword v128, off, s[24:27], 0 offset:84 ; 4-byte Folded Reload
	v_mul_f32_e32 v127, 0x3f3d2fb0, v159
	v_add_f32_e32 v140, v48, v140
	v_add_f32_e32 v48, v48, v52
	v_fma_f32 v52, v159, s17, -v141
	v_add_f32_e32 v48, v52, v48
	v_fma_f32 v52, v160, s19, -v142
	v_add_f32_e32 v48, v52, v48
	v_fma_f32 v52, v162, s21, -v143
	v_add_f32_e32 v48, v52, v48
	v_fma_f32 v52, v164, s20, -v144
	v_add_f32_e32 v48, v52, v48
	v_fma_f32 v52, v166, s18, -v145
	v_add_f32_e32 v48, v52, v48
	v_fma_f32 v52, v168, s16, -v146
	v_add_f32_e32 v48, v52, v48
	v_fma_f32 v52, v171, s10, -v147
	v_add_f32_e32 v48, v52, v48
	v_mul_lo_u16_e32 v52, 17, v134
	v_lshlrev_b32_e32 v52, 3, v52
	buffer_load_dword v133, off, s[24:27], 0 ; 4-byte Folded Reload
	s_waitcnt vmcnt(1)
	v_add_f32_e32 v148, v127, v128
	buffer_load_dword v128, off, s[24:27], 0 offset:100 ; 4-byte Folded Reload
	v_mul_f32_e32 v127, 0x3ee437d1, v160
	v_add_f32_e32 v140, v148, v140
	s_waitcnt vmcnt(0)
	v_add_f32_e32 v148, v127, v128
	buffer_load_dword v128, off, s[24:27], 0 offset:108 ; 4-byte Folded Reload
	v_mul_f32_e32 v127, 0x3dbcf732, v162
	v_add_f32_e32 v140, v148, v140
	;; [unrolled: 5-line block ×6, first 2 shown]
	s_waitcnt vmcnt(0)
	v_add_f32_e32 v148, v127, v128
	v_add_f32_e32 v177, v148, v140
	buffer_load_dword v148, off, s[24:27], 0 offset:52 ; 4-byte Folded Reload
	buffer_load_dword v140, off, s[24:27], 0 offset:20 ; 4-byte Folded Reload
	;; [unrolled: 1-line block ×13, first 2 shown]
	ds_write2_b64 v52, v[50:51], v[177:178] offset1:1
	ds_write2_b64 v52, v[194:195], v[222:223] offset0:2 offset1:3
	ds_write2_b64 v52, v[248:249], v[246:247] offset0:4 offset1:5
	;; [unrolled: 1-line block ×5, first 2 shown]
	buffer_load_dword v50, off, s[24:27], 0 offset:76 ; 4-byte Folded Reload
	buffer_load_dword v51, off, s[24:27], 0 offset:80 ; 4-byte Folded Reload
	;; [unrolled: 1-line block ×4, first 2 shown]
	s_waitcnt vmcnt(0)
	ds_write2_b64 v52, v[53:54], v[50:51] offset0:12 offset1:13
	buffer_load_dword v50, off, s[24:27], 0 offset:68 ; 4-byte Folded Reload
	buffer_load_dword v51, off, s[24:27], 0 offset:72 ; 4-byte Folded Reload
	s_waitcnt vmcnt(0)
	ds_write2_b64 v52, v[50:51], v[48:49] offset0:14 offset1:15
	ds_write_b64 v52, v[121:122] offset:128
.LBB0_17:
	s_or_b64 exec, exec, s[8:9]
	v_add_u32_e32 v80, 0x1800, v135
	s_waitcnt lgkmcnt(0)
	s_barrier
	ds_read2_b64 v[52:55], v80 offset0:48 offset1:150
	v_add_u32_e32 v120, 0x1c00, v135
	ds_read2_b64 v[60:63], v120 offset0:124 offset1:226
	v_add_u32_e32 v124, 0x2400, v135
	ds_read2_b64 v[68:71], v124 offset0:72 offset1:174
	s_waitcnt lgkmcnt(2)
	v_mul_f32_e32 v127, v88, v53
	v_add_u32_e32 v126, 0x2800, v135
	v_fmac_f32_e32 v127, v87, v52
	v_mul_f32_e32 v52, v88, v52
	ds_read2_b64 v[76:79], v126 offset0:148 offset1:250
	v_fma_f32 v53, v87, v53, -v52
	v_mul_f32_e32 v52, v86, v54
	v_mul_f32_e32 v87, v86, v55
	v_fma_f32 v55, v85, v55, -v52
	s_waitcnt lgkmcnt(2)
	v_mul_f32_e32 v52, v84, v60
	v_add_u32_e32 v119, 0x400, v135
	v_add_u32_e32 v123, 0x800, v135
	v_add_u32_e32 v125, 0x1000, v135
	v_fmac_f32_e32 v87, v85, v54
	v_mul_f32_e32 v85, v84, v61
	v_fma_f32 v61, v83, v61, -v52
	v_mul_f32_e32 v52, v82, v62
	ds_read2_b64 v[48:51], v135 offset1:102
	ds_read2_b64 v[56:59], v119 offset0:76 offset1:178
	ds_read2_b64 v[64:67], v123 offset0:152 offset1:254
	;; [unrolled: 1-line block ×3, first 2 shown]
	v_fmac_f32_e32 v85, v83, v60
	v_mul_f32_e32 v83, v82, v63
	v_fma_f32 v63, v81, v63, -v52
	s_waitcnt lgkmcnt(5)
	v_mul_f32_e32 v52, v92, v68
	v_fmac_f32_e32 v83, v81, v62
	v_mul_f32_e32 v81, v92, v69
	v_fma_f32 v69, v91, v69, -v52
	v_mul_f32_e32 v52, v90, v70
	v_mul_f32_e32 v82, v90, v71
	v_fma_f32 v71, v89, v71, -v52
	s_waitcnt lgkmcnt(4)
	v_mul_f32_e32 v52, v96, v76
	v_mul_f32_e32 v84, v96, v77
	v_fma_f32 v77, v95, v77, -v52
	v_mul_f32_e32 v86, v94, v79
	v_mul_f32_e32 v52, v94, v78
	v_fmac_f32_e32 v81, v91, v68
	v_fmac_f32_e32 v82, v89, v70
	;; [unrolled: 1-line block ×4, first 2 shown]
	v_fma_f32 v79, v93, v79, -v52
	s_waitcnt lgkmcnt(3)
	v_sub_f32_e32 v52, v48, v127
	v_sub_f32_e32 v53, v49, v53
	v_sub_f32_e32 v54, v50, v87
	v_sub_f32_e32 v55, v51, v55
	s_waitcnt lgkmcnt(2)
	v_sub_f32_e32 v60, v56, v85
	v_sub_f32_e32 v61, v57, v61
	v_sub_f32_e32 v62, v58, v83
	v_sub_f32_e32 v63, v59, v63
	;; [unrolled: 5-line block ×4, first 2 shown]
	v_fma_f32 v48, v48, 2.0, -v52
	v_fma_f32 v49, v49, 2.0, -v53
	;; [unrolled: 1-line block ×16, first 2 shown]
	s_barrier
	ds_write2_b64 v133, v[48:49], v[52:53] offset1:17
	ds_write2_b64 v136, v[50:51], v[54:55] offset1:17
	;; [unrolled: 1-line block ×8, first 2 shown]
	s_waitcnt lgkmcnt(0)
	s_barrier
	ds_read2_b64 v[48:51], v135 offset1:102
	ds_read2_b64 v[52:55], v80 offset0:48 offset1:150
	ds_read2_b64 v[56:59], v119 offset0:76 offset1:178
	;; [unrolled: 1-line block ×7, first 2 shown]
	s_waitcnt lgkmcnt(6)
	v_mul_f32_e32 v81, v100, v53
	v_fmac_f32_e32 v81, v99, v52
	v_mul_f32_e32 v52, v100, v52
	v_fma_f32 v53, v99, v53, -v52
	v_mul_f32_e32 v52, v104, v54
	v_mul_f32_e32 v82, v104, v55
	v_fma_f32 v55, v103, v55, -v52
	s_waitcnt lgkmcnt(4)
	v_mul_f32_e32 v52, v102, v60
	v_mul_f32_e32 v83, v102, v61
	v_fma_f32 v61, v101, v61, -v52
	v_mul_f32_e32 v52, v98, v62
	v_mul_f32_e32 v84, v98, v63
	v_fma_f32 v63, v97, v63, -v52
	s_waitcnt lgkmcnt(2)
	v_mul_f32_e32 v52, v106, v68
	;; [unrolled: 7-line block ×3, first 2 shown]
	v_mul_f32_e32 v52, v112, v76
	v_fmac_f32_e32 v87, v111, v76
	v_fma_f32 v76, v111, v77, -v52
	v_mul_f32_e32 v77, v110, v79
	v_mul_f32_e32 v52, v110, v78
	v_fmac_f32_e32 v82, v103, v54
	v_fmac_f32_e32 v83, v101, v60
	;; [unrolled: 1-line block ×6, first 2 shown]
	v_fma_f32 v88, v109, v79, -v52
	v_sub_f32_e32 v52, v48, v81
	v_sub_f32_e32 v53, v49, v53
	v_fma_f32 v48, v48, 2.0, -v52
	v_fma_f32 v49, v49, 2.0, -v53
	v_sub_f32_e32 v54, v50, v82
	v_sub_f32_e32 v55, v51, v55
	;; [unrolled: 1-line block ×14, first 2 shown]
	v_fma_f32 v50, v50, 2.0, -v54
	v_fma_f32 v51, v51, 2.0, -v55
	;; [unrolled: 1-line block ×14, first 2 shown]
	s_barrier
	ds_write2_b64 v143, v[48:49], v[52:53] offset1:34
	ds_write2_b64 v144, v[50:51], v[54:55] offset1:34
	;; [unrolled: 1-line block ×8, first 2 shown]
	v_add_u32_e32 v48, 0xc00, v135
	v_add_u32_e32 v52, 0x2000, v135
	s_waitcnt lgkmcnt(0)
	s_barrier
	ds_read2_b64 v[56:59], v135 offset1:102
	ds_read2_b64 v[48:51], v48 offset0:24 offset1:160
	ds_read2_b64 v[72:75], v52 offset0:64 offset1:166
	;; [unrolled: 1-line block ×6, first 2 shown]
	ds_read_b64 v[78:79], v135 offset:11968
	s_and_saveexec_b64 s[8:9], s[2:3]
	s_cbranch_execz .LBB0_19
; %bb.18:
	ds_read_b64 v[76:77], v135 offset:4080
	ds_read_b64 v[121:122], v135 offset:8432
	;; [unrolled: 1-line block ×3, first 2 shown]
.LBB0_19:
	s_or_b64 exec, exec, s[8:9]
	s_waitcnt lgkmcnt(6)
	v_mul_f32_e32 v80, v21, v51
	v_mul_f32_e32 v21, v21, v50
	v_fmac_f32_e32 v80, v20, v50
	v_fma_f32 v20, v20, v51, -v21
	s_waitcnt lgkmcnt(5)
	v_mul_f32_e32 v21, v23, v73
	v_mul_f32_e32 v23, v23, v72
	v_fmac_f32_e32 v21, v22, v72
	v_fma_f32 v22, v22, v73, -v23
	;; [unrolled: 5-line block ×3, first 2 shown]
	v_mul_f32_e32 v17, v19, v75
	v_mul_f32_e32 v19, v19, v74
	v_fmac_f32_e32 v17, v18, v74
	v_fma_f32 v18, v18, v75, -v19
	v_mul_f32_e32 v19, v5, v71
	v_mul_f32_e32 v5, v5, v70
	v_fmac_f32_e32 v19, v4, v70
	v_fma_f32 v50, v4, v71, -v5
	s_waitcnt lgkmcnt(2)
	v_mul_f32_e32 v51, v7, v65
	v_mul_f32_e32 v4, v7, v64
	v_fmac_f32_e32 v51, v6, v64
	v_fma_f32 v64, v6, v65, -v4
	s_waitcnt lgkmcnt(1)
	v_mul_f32_e32 v65, v9, v61
	v_mul_f32_e32 v4, v9, v60
	v_add_f32_e32 v7, v20, v22
	v_fmac_f32_e32 v65, v8, v60
	v_fma_f32 v60, v8, v61, -v4
	v_mul_f32_e32 v61, v11, v67
	v_mul_f32_e32 v4, v11, v66
	v_fma_f32 v7, -0.5, v7, v57
	v_fmac_f32_e32 v61, v10, v66
	v_fma_f32 v66, v10, v67, -v4
	v_sub_f32_e32 v10, v80, v21
	v_mov_b32_e32 v9, v7
	v_add_f32_e32 v11, v23, v17
	v_mul_f32_e32 v67, v13, v63
	v_mul_f32_e32 v4, v13, v62
	v_fmac_f32_e32 v9, 0x3f5db3d7, v10
	v_fmac_f32_e32 v7, 0xbf5db3d7, v10
	v_add_f32_e32 v10, v58, v23
	v_fma_f32 v58, -0.5, v11, v58
	v_fmac_f32_e32 v67, v12, v62
	v_fma_f32 v62, v12, v63, -v4
	s_waitcnt lgkmcnt(0)
	v_mul_f32_e32 v63, v15, v79
	v_mul_f32_e32 v4, v15, v78
	v_add_f32_e32 v5, v80, v21
	v_sub_f32_e32 v11, v16, v18
	v_mov_b32_e32 v12, v58
	v_add_f32_e32 v13, v16, v18
	v_fmac_f32_e32 v63, v14, v78
	v_fma_f32 v68, v14, v79, -v4
	v_fma_f32 v6, -0.5, v5, v56
	v_add_f32_e32 v10, v10, v17
	v_fmac_f32_e32 v12, 0xbf5db3d7, v11
	v_fmac_f32_e32 v58, 0x3f5db3d7, v11
	v_add_f32_e32 v11, v59, v16
	v_fmac_f32_e32 v59, -0.5, v13
	v_sub_f32_e32 v14, v23, v17
	v_add_f32_e32 v17, v50, v64
	v_add_f32_e32 v4, v56, v80
	v_sub_f32_e32 v5, v20, v22
	v_mov_b32_e32 v8, v6
	v_mov_b32_e32 v13, v59
	v_fma_f32 v17, -0.5, v17, v53
	v_add_f32_e32 v4, v4, v21
	v_fmac_f32_e32 v8, 0xbf5db3d7, v5
	v_fmac_f32_e32 v6, 0x3f5db3d7, v5
	v_add_f32_e32 v5, v57, v20
	v_fmac_f32_e32 v13, 0x3f5db3d7, v14
	v_fmac_f32_e32 v59, 0xbf5db3d7, v14
	v_add_f32_e32 v14, v52, v19
	v_add_f32_e32 v15, v19, v51
	v_sub_f32_e32 v20, v19, v51
	v_mov_b32_e32 v19, v17
	v_add_f32_e32 v21, v65, v61
	v_fmac_f32_e32 v19, 0x3f5db3d7, v20
	v_fmac_f32_e32 v17, 0xbf5db3d7, v20
	v_add_f32_e32 v20, v54, v65
	v_fma_f32 v54, -0.5, v21, v54
	v_add_f32_e32 v5, v5, v22
	v_fma_f32 v16, -0.5, v15, v52
	v_sub_f32_e32 v21, v60, v66
	v_mov_b32_e32 v22, v54
	v_add_f32_e32 v23, v60, v66
	v_add_f32_e32 v11, v11, v18
	v_sub_f32_e32 v15, v50, v64
	v_mov_b32_e32 v18, v16
	v_fmac_f32_e32 v22, 0xbf5db3d7, v21
	v_fmac_f32_e32 v54, 0x3f5db3d7, v21
	v_add_f32_e32 v21, v55, v60
	v_fmac_f32_e32 v55, -0.5, v23
	v_add_f32_e32 v14, v14, v51
	v_fmac_f32_e32 v18, 0xbf5db3d7, v15
	v_fmac_f32_e32 v16, 0x3f5db3d7, v15
	v_add_f32_e32 v15, v53, v50
	v_sub_f32_e32 v50, v65, v61
	v_mov_b32_e32 v23, v55
	v_add_f32_e32 v51, v67, v63
	v_fmac_f32_e32 v23, 0x3f5db3d7, v50
	v_fmac_f32_e32 v55, 0xbf5db3d7, v50
	v_add_f32_e32 v50, v48, v67
	v_fma_f32 v48, -0.5, v51, v48
	v_sub_f32_e32 v51, v62, v68
	v_mov_b32_e32 v52, v48
	v_add_f32_e32 v53, v62, v68
	v_fmac_f32_e32 v52, 0xbf5db3d7, v51
	v_fmac_f32_e32 v48, 0x3f5db3d7, v51
	v_add_f32_e32 v51, v49, v62
	v_fmac_f32_e32 v49, -0.5, v53
	v_sub_f32_e32 v56, v67, v63
	v_mov_b32_e32 v53, v49
	v_add_f32_e32 v15, v15, v64
	v_add_f32_e32 v20, v20, v61
	;; [unrolled: 1-line block ×5, first 2 shown]
	v_fmac_f32_e32 v53, 0x3f5db3d7, v56
	v_fmac_f32_e32 v49, 0xbf5db3d7, v56
	s_barrier
	ds_write2_b64 v153, v[4:5], v[8:9] offset1:68
	ds_write_b64 v153, v[6:7] offset:1088
	ds_write2_b64 v154, v[10:11], v[12:13] offset1:68
	ds_write_b64 v154, v[58:59] offset:1088
	;; [unrolled: 2-line block ×5, first 2 shown]
	s_and_saveexec_b64 s[8:9], s[2:3]
	s_cbranch_execz .LBB0_21
; %bb.20:
	v_mul_f32_e32 v4, v1, v121
	v_fma_f32 v5, v0, v122, -v4
	v_mul_f32_e32 v4, v3, v113
	v_fma_f32 v7, v2, v114, -v4
	v_add_f32_e32 v4, v5, v7
	v_mul_f32_e32 v8, v1, v122
	v_mul_f32_e32 v9, v3, v114
	v_fma_f32 v4, -0.5, v4, v77
	v_fmac_f32_e32 v8, v0, v121
	v_fmac_f32_e32 v9, v2, v113
	v_sub_f32_e32 v0, v8, v9
	v_mov_b32_e32 v1, v4
	v_fmac_f32_e32 v1, 0xbf5db3d7, v0
	v_fmac_f32_e32 v4, 0x3f5db3d7, v0
	v_add_f32_e32 v0, v77, v5
	v_add_f32_e32 v6, v0, v7
	;; [unrolled: 1-line block ×3, first 2 shown]
	v_fma_f32 v3, -0.5, v0, v76
	v_sub_f32_e32 v2, v5, v7
	v_mov_b32_e32 v0, v3
	v_fmac_f32_e32 v0, 0x3f5db3d7, v2
	v_fmac_f32_e32 v3, 0xbf5db3d7, v2
	v_add_f32_e32 v2, v76, v8
	v_add_f32_e32 v5, v2, v9
	v_add_u32_e32 v2, 0x2800, v152
	ds_write2_b64 v2, v[5:6], v[3:4] offset0:148 offset1:216
	ds_write_b64 v152, v[0:1] offset:12512
.LBB0_21:
	s_or_b64 exec, exec, s[8:9]
	v_add_u32_e32 v56, 0x400, v135
	s_waitcnt lgkmcnt(0)
	s_barrier
	ds_read2_b64 v[4:7], v56 offset0:76 offset1:178
	v_add_u32_e32 v57, 0x800, v135
	ds_read2_b64 v[8:11], v57 offset0:152 offset1:254
	v_add_u32_e32 v58, 0x1000, v135
	ds_read2_b64 v[12:15], v58 offset0:100 offset1:202
	v_add_u32_e32 v59, 0x1800, v135
	s_waitcnt lgkmcnt(2)
	v_mul_f32_e32 v63, v33, v5
	ds_read2_b64 v[16:19], v59 offset0:48 offset1:150
	v_fmac_f32_e32 v63, v32, v4
	v_mul_f32_e32 v4, v33, v4
	v_add_u32_e32 v60, 0x1c00, v135
	v_fma_f32 v4, v32, v5, -v4
	s_waitcnt lgkmcnt(2)
	v_mul_f32_e32 v5, v35, v9
	ds_read2_b64 v[20:23], v60 offset0:124 offset1:226
	v_fmac_f32_e32 v5, v34, v8
	v_mul_f32_e32 v8, v35, v8
	v_add_u32_e32 v61, 0x2400, v135
	v_fma_f32 v8, v34, v9, -v8
	s_waitcnt lgkmcnt(2)
	v_mul_f32_e32 v9, v29, v13
	ds_read2_b64 v[48:51], v61 offset0:72 offset1:174
	v_fmac_f32_e32 v9, v28, v12
	v_mul_f32_e32 v12, v29, v12
	v_fma_f32 v12, v28, v13, -v12
	s_waitcnt lgkmcnt(2)
	v_mul_f32_e32 v13, v31, v17
	v_fmac_f32_e32 v13, v30, v16
	v_mul_f32_e32 v16, v31, v16
	v_fma_f32 v16, v30, v17, -v16
	s_waitcnt lgkmcnt(1)
	v_mul_f32_e32 v17, v25, v21
	v_fmac_f32_e32 v17, v24, v20
	v_mul_f32_e32 v20, v25, v20
	v_add_u32_e32 v62, 0x2800, v135
	v_fma_f32 v20, v24, v21, -v20
	s_waitcnt lgkmcnt(0)
	v_mul_f32_e32 v21, v27, v49
	v_mul_f32_e32 v24, v27, v48
	;; [unrolled: 1-line block ×3, first 2 shown]
	ds_read2_b64 v[52:55], v62 offset0:148 offset1:250
	v_fmac_f32_e32 v27, v44, v6
	v_mul_f32_e32 v6, v45, v6
	ds_read2_b64 v[0:3], v135 offset1:102
	v_fma_f32 v28, v44, v7, -v6
	v_mul_f32_e32 v6, v47, v10
	v_fma_f32 v30, v46, v11, -v6
	v_mul_f32_e32 v6, v41, v14
	;; [unrolled: 2-line block ×3, first 2 shown]
	v_mul_f32_e32 v6, v43, v18
	v_fmac_f32_e32 v33, v42, v18
	v_fma_f32 v18, v42, v19, -v6
	v_mul_f32_e32 v19, v37, v23
	v_mul_f32_e32 v6, v37, v22
	v_fmac_f32_e32 v21, v26, v48
	v_fma_f32 v24, v26, v49, -v24
	s_waitcnt lgkmcnt(1)
	v_mul_f32_e32 v25, v116, v53
	v_mul_f32_e32 v26, v116, v52
	;; [unrolled: 1-line block ×3, first 2 shown]
	v_fmac_f32_e32 v19, v36, v22
	v_fma_f32 v22, v36, v23, -v6
	v_mul_f32_e32 v6, v39, v50
	v_fmac_f32_e32 v25, v115, v52
	v_fma_f32 v26, v115, v53, -v26
	v_fmac_f32_e32 v29, v46, v10
	v_mul_f32_e32 v31, v41, v15
	v_fma_f32 v34, v38, v51, -v6
	v_mul_f32_e32 v6, v118, v54
	s_waitcnt lgkmcnt(0)
	v_sub_f32_e32 v7, v1, v16
	v_sub_f32_e32 v10, v5, v21
	v_fmac_f32_e32 v31, v40, v14
	v_fma_f32 v36, v117, v55, -v6
	v_sub_f32_e32 v6, v0, v13
	v_sub_f32_e32 v11, v8, v24
	;; [unrolled: 1-line block ×7, first 2 shown]
	v_fma_f32 v8, v8, 2.0, -v11
	v_fma_f32 v15, v63, 2.0, -v13
	;; [unrolled: 1-line block ×4, first 2 shown]
	v_add_f32_e32 v24, v6, v11
	v_fma_f32 v11, v7, 2.0, -v25
	v_add_f32_e32 v17, v13, v17
	v_sub_f32_e32 v16, v14, v16
	v_fma_f32 v0, v0, 2.0, -v6
	v_fma_f32 v1, v1, 2.0, -v7
	;; [unrolled: 1-line block ×5, first 2 shown]
	v_sub_f32_e32 v26, v15, v9
	v_fma_f32 v9, v13, 2.0, -v17
	v_fma_f32 v13, v14, 2.0, -v16
	v_mov_b32_e32 v7, v11
	v_sub_f32_e32 v20, v0, v5
	v_sub_f32_e32 v21, v1, v8
	;; [unrolled: 1-line block ×3, first 2 shown]
	v_mov_b32_e32 v6, v10
	v_fmac_f32_e32 v7, 0xbf3504f3, v13
	v_mul_f32_e32 v23, v39, v51
	v_fma_f32 v5, v0, 2.0, -v20
	v_fma_f32 v8, v1, 2.0, -v21
	;; [unrolled: 1-line block ×4, first 2 shown]
	v_fmac_f32_e32 v6, 0xbf3504f3, v9
	v_fmac_f32_e32 v7, 0xbf3504f3, v9
	v_mov_b32_e32 v14, v24
	v_fmac_f32_e32 v23, v38, v50
	v_mul_f32_e32 v35, v118, v55
	v_sub_f32_e32 v0, v5, v0
	v_sub_f32_e32 v1, v8, v1
	v_fmac_f32_e32 v6, 0x3f3504f3, v13
	v_fma_f32 v9, v11, 2.0, -v7
	v_sub_f32_e32 v11, v21, v26
	v_fmac_f32_e32 v14, 0x3f3504f3, v17
	v_mov_b32_e32 v15, v25
	v_fmac_f32_e32 v35, v117, v54
	v_fma_f32 v4, v5, 2.0, -v0
	v_fma_f32 v5, v8, 2.0, -v1
	;; [unrolled: 1-line block ×3, first 2 shown]
	v_add_f32_e32 v10, v20, v12
	v_fma_f32 v13, v21, 2.0, -v11
	v_fmac_f32_e32 v15, 0x3f3504f3, v16
	v_fmac_f32_e32 v14, 0x3f3504f3, v16
	v_sub_f32_e32 v21, v29, v23
	v_sub_f32_e32 v19, v27, v19
	;; [unrolled: 1-line block ×3, first 2 shown]
	v_fma_f32 v12, v20, 2.0, -v10
	v_fmac_f32_e32 v15, 0xbf3504f3, v17
	v_fma_f32 v16, v24, 2.0, -v14
	v_sub_f32_e32 v20, v2, v33
	v_sub_f32_e32 v18, v3, v18
	;; [unrolled: 1-line block ×3, first 2 shown]
	v_fma_f32 v24, v29, 2.0, -v21
	v_fma_f32 v26, v27, 2.0, -v19
	v_fma_f32 v27, v28, 2.0, -v22
	v_sub_f32_e32 v28, v31, v35
	v_sub_f32_e32 v29, v32, v36
	v_fma_f32 v17, v25, 2.0, -v15
	v_fma_f32 v2, v2, 2.0, -v20
	;; [unrolled: 1-line block ×6, first 2 shown]
	v_add_f32_e32 v34, v20, v23
	v_sub_f32_e32 v35, v18, v21
	v_sub_f32_e32 v32, v2, v24
	;; [unrolled: 1-line block ×3, first 2 shown]
	v_fma_f32 v23, v20, 2.0, -v34
	v_fma_f32 v36, v18, 2.0, -v35
	v_sub_f32_e32 v30, v26, v30
	v_sub_f32_e32 v31, v27, v31
	v_add_f32_e32 v37, v19, v29
	v_sub_f32_e32 v38, v22, v28
	v_fma_f32 v24, v2, 2.0, -v32
	v_fma_f32 v25, v3, 2.0, -v33
	;; [unrolled: 1-line block ×6, first 2 shown]
	v_mov_b32_e32 v20, v23
	v_mov_b32_e32 v21, v36
	;; [unrolled: 1-line block ×4, first 2 shown]
	v_sub_f32_e32 v2, v24, v2
	v_sub_f32_e32 v3, v25, v3
	v_fmac_f32_e32 v20, 0xbf3504f3, v26
	v_fmac_f32_e32 v21, 0xbf3504f3, v22
	;; [unrolled: 1-line block ×4, first 2 shown]
	s_movk_i32 s2, 0x1000
	v_fma_f32 v18, v24, 2.0, -v2
	v_fma_f32 v19, v25, 2.0, -v3
	v_fmac_f32_e32 v20, 0x3f3504f3, v22
	v_fmac_f32_e32 v21, 0xbf3504f3, v26
	v_add_f32_e32 v24, v32, v31
	v_sub_f32_e32 v25, v33, v30
	v_fmac_f32_e32 v28, 0x3f3504f3, v38
	v_fmac_f32_e32 v29, 0xbf3504f3, v37
	v_fma_f32 v22, v23, 2.0, -v20
	v_fma_f32 v23, v36, 2.0, -v21
	;; [unrolled: 1-line block ×6, first 2 shown]
	ds_write2_b64 v135, v[4:5], v[18:19] offset1:102
	ds_write2_b64 v56, v[8:9], v[22:23] offset0:76 offset1:178
	ds_write2_b64 v57, v[12:13], v[26:27] offset0:152 offset1:254
	;; [unrolled: 1-line block ×7, first 2 shown]
	s_waitcnt lgkmcnt(0)
	s_barrier
	s_and_b64 exec, exec, s[0:1]
	s_cbranch_execz .LBB0_23
; %bb.22:
	global_load_dwordx2 v[0:1], v149, s[12:13]
	ds_read_b64 v[4:5], v135
	v_mad_u64_u32 v[2:3], s[0:1], s6, v213, 0
	v_mad_u64_u32 v[6:7], s[0:1], s4, v134, 0
	s_waitcnt lgkmcnt(0)
	v_mad_u64_u32 v[8:9], s[6:7], s7, v213, v[3:4]
	s_mov_b32 s0, 0x14141414
	s_mov_b32 s1, 0x3f441414
	v_mad_u64_u32 v[9:10], s[6:7], s5, v134, v[7:8]
	v_mov_b32_e32 v11, s15
	s_mul_i32 s6, s5, 0x300
	v_mov_b32_e32 v7, v9
	s_mul_hi_u32 s7, s4, 0x300
	s_mul_i32 s3, s4, 0x300
	s_add_i32 s6, s7, s6
	s_mul_i32 s7, s4, 0x600
	v_mov_b32_e32 v16, s6
	s_waitcnt vmcnt(0)
	v_mul_f32_e32 v3, v5, v1
	v_mul_f32_e32 v1, v4, v1
	v_fmac_f32_e32 v3, v4, v0
	v_fma_f32 v4, v0, v5, -v1
	v_cvt_f64_f32_e32 v[0:1], v3
	v_cvt_f64_f32_e32 v[4:5], v4
	v_mov_b32_e32 v3, v8
	v_mul_f64 v[8:9], v[0:1], s[0:1]
	v_mul_f64 v[4:5], v[4:5], s[0:1]
	v_lshlrev_b64 v[0:1], 3, v[2:3]
	v_lshlrev_b64 v[2:3], 3, v[6:7]
	v_add_co_u32_e32 v0, vcc, s14, v0
	v_addc_co_u32_e32 v1, vcc, v11, v1, vcc
	v_cvt_f32_f64_e32 v6, v[8:9]
	v_cvt_f32_f64_e32 v7, v[4:5]
	v_add_co_u32_e32 v8, vcc, v0, v2
	v_addc_co_u32_e32 v9, vcc, v1, v3, vcc
	global_store_dwordx2 v[8:9], v[6:7], off
	global_load_dwordx2 v[6:7], v149, s[12:13] offset:768
	ds_read2_b64 v[2:5], v149 offset0:96 offset1:192
	s_waitcnt vmcnt(0) lgkmcnt(0)
	v_mul_f32_e32 v10, v3, v7
	v_mul_f32_e32 v7, v2, v7
	v_fmac_f32_e32 v10, v2, v6
	v_fma_f32 v6, v6, v3, -v7
	v_cvt_f64_f32_e32 v[2:3], v10
	v_cvt_f64_f32_e32 v[6:7], v6
	v_mov_b32_e32 v10, s6
	v_mul_f64 v[2:3], v[2:3], s[0:1]
	v_mul_f64 v[6:7], v[6:7], s[0:1]
	v_cvt_f32_f64_e32 v2, v[2:3]
	v_cvt_f32_f64_e32 v3, v[6:7]
	v_add_co_u32_e32 v6, vcc, s3, v8
	v_addc_co_u32_e32 v7, vcc, v9, v10, vcc
	global_store_dwordx2 v[6:7], v[2:3], off
	global_load_dwordx2 v[2:3], v149, s[12:13] offset:1536
	v_add_co_u32_e32 v6, vcc, s3, v6
	s_waitcnt vmcnt(0)
	v_mul_f32_e32 v8, v5, v3
	v_mul_f32_e32 v3, v4, v3
	v_fmac_f32_e32 v8, v4, v2
	v_fma_f32 v4, v2, v5, -v3
	v_cvt_f64_f32_e32 v[2:3], v8
	v_cvt_f64_f32_e32 v[4:5], v4
	v_mov_b32_e32 v8, s6
	v_addc_co_u32_e32 v7, vcc, v7, v8, vcc
	v_mul_f64 v[2:3], v[2:3], s[0:1]
	v_mul_f64 v[4:5], v[4:5], s[0:1]
	v_cvt_f32_f64_e32 v2, v[2:3]
	v_cvt_f32_f64_e32 v3, v[4:5]
	global_store_dwordx2 v[6:7], v[2:3], off
	global_load_dwordx2 v[8:9], v149, s[12:13] offset:2304
	v_add_u32_e32 v2, 0x800, v149
	ds_read2_b64 v[2:5], v2 offset0:32 offset1:128
	v_add_co_u32_e32 v6, vcc, s3, v6
	s_waitcnt vmcnt(0) lgkmcnt(0)
	v_mul_f32_e32 v10, v3, v9
	v_mul_f32_e32 v9, v2, v9
	v_fmac_f32_e32 v10, v2, v8
	v_fma_f32 v8, v8, v3, -v9
	v_cvt_f64_f32_e32 v[2:3], v10
	v_cvt_f64_f32_e32 v[8:9], v8
	v_mov_b32_e32 v10, s6
	v_addc_co_u32_e32 v7, vcc, v7, v10, vcc
	v_mul_f64 v[2:3], v[2:3], s[0:1]
	v_mul_f64 v[8:9], v[8:9], s[0:1]
	v_or_b32_e32 v10, 0x180, v134
	v_cvt_f32_f64_e32 v2, v[2:3]
	v_cvt_f32_f64_e32 v3, v[8:9]
	v_mad_u64_u32 v[8:9], s[8:9], s4, v10, 0
	global_store_dwordx2 v[6:7], v[2:3], off
	global_load_dwordx2 v[2:3], v149, s[12:13] offset:3072
	v_mad_u64_u32 v[9:10], s[8:9], s5, v10, v[9:10]
	v_mov_b32_e32 v10, s13
	s_mul_i32 s8, s5, 0x600
	v_lshlrev_b64 v[8:9], 3, v[8:9]
	s_mul_hi_u32 s9, s4, 0x600
	s_add_i32 s8, s9, s8
	v_mov_b32_e32 v12, s8
	s_waitcnt vmcnt(0)
	v_mul_f32_e32 v11, v5, v3
	v_mul_f32_e32 v3, v4, v3
	v_fmac_f32_e32 v11, v4, v2
	v_fma_f32 v4, v2, v5, -v3
	v_cvt_f64_f32_e32 v[2:3], v11
	v_cvt_f64_f32_e32 v[4:5], v4
	v_mul_f64 v[2:3], v[2:3], s[0:1]
	v_mul_f64 v[4:5], v[4:5], s[0:1]
	v_cvt_f32_f64_e32 v2, v[2:3]
	v_cvt_f32_f64_e32 v3, v[4:5]
	v_add_co_u32_e32 v4, vcc, v0, v8
	v_addc_co_u32_e32 v5, vcc, v1, v9, vcc
	global_store_dwordx2 v[4:5], v[2:3], off
	global_load_dwordx2 v[8:9], v149, s[12:13] offset:3840
	v_add_u32_e32 v2, 0xc00, v149
	ds_read2_b64 v[2:5], v2 offset0:96 offset1:192
	v_add_co_u32_e32 v14, vcc, s12, v149
	v_addc_co_u32_e32 v15, vcc, 0, v10, vcc
	v_add_co_u32_e32 v10, vcc, s2, v14
	s_movk_i32 s2, 0x2000
	s_waitcnt vmcnt(0) lgkmcnt(0)
	v_mul_f32_e32 v11, v3, v9
	v_mul_f32_e32 v9, v2, v9
	v_fmac_f32_e32 v11, v2, v8
	v_fma_f32 v8, v8, v3, -v9
	v_cvt_f64_f32_e32 v[2:3], v11
	v_cvt_f64_f32_e32 v[8:9], v8
	v_addc_co_u32_e32 v11, vcc, 0, v15, vcc
	v_mul_f64 v[2:3], v[2:3], s[0:1]
	v_mul_f64 v[8:9], v[8:9], s[0:1]
	v_add_co_u32_e32 v6, vcc, s7, v6
	v_addc_co_u32_e32 v7, vcc, v7, v12, vcc
	v_cvt_f32_f64_e32 v2, v[2:3]
	v_cvt_f32_f64_e32 v3, v[8:9]
	global_store_dwordx2 v[6:7], v[2:3], off
	global_load_dwordx2 v[2:3], v[10:11], off offset:512
	v_add_co_u32_e32 v6, vcc, s3, v6
	s_waitcnt vmcnt(0)
	v_mul_f32_e32 v8, v5, v3
	v_mul_f32_e32 v3, v4, v3
	v_fmac_f32_e32 v8, v4, v2
	v_fma_f32 v4, v2, v5, -v3
	v_cvt_f64_f32_e32 v[2:3], v8
	v_cvt_f64_f32_e32 v[4:5], v4
	v_mov_b32_e32 v8, s6
	v_addc_co_u32_e32 v7, vcc, v7, v8, vcc
	v_mul_f64 v[2:3], v[2:3], s[0:1]
	v_mul_f64 v[4:5], v[4:5], s[0:1]
	v_cvt_f32_f64_e32 v2, v[2:3]
	v_cvt_f32_f64_e32 v3, v[4:5]
	global_store_dwordx2 v[6:7], v[2:3], off
	global_load_dwordx2 v[8:9], v[10:11], off offset:1280
	v_add_u32_e32 v2, 0x1400, v149
	ds_read2_b64 v[2:5], v2 offset0:32 offset1:128
	v_add_co_u32_e32 v6, vcc, s3, v6
	v_addc_co_u32_e32 v7, vcc, v7, v16, vcc
	s_waitcnt vmcnt(0) lgkmcnt(0)
	v_mul_f32_e32 v12, v3, v9
	v_mul_f32_e32 v9, v2, v9
	v_fmac_f32_e32 v12, v2, v8
	v_fma_f32 v8, v8, v3, -v9
	v_cvt_f64_f32_e32 v[2:3], v12
	v_cvt_f64_f32_e32 v[8:9], v8
	v_or_b32_e32 v12, 0x300, v134
	v_lshlrev_b32_e32 v13, 3, v12
	v_mul_f64 v[2:3], v[2:3], s[0:1]
	v_mul_f64 v[8:9], v[8:9], s[0:1]
	v_cvt_f32_f64_e32 v2, v[2:3]
	v_cvt_f32_f64_e32 v3, v[8:9]
	v_mad_u64_u32 v[8:9], s[10:11], s4, v12, 0
	global_store_dwordx2 v[6:7], v[2:3], off
	global_load_dwordx2 v[2:3], v13, s[12:13]
	s_waitcnt vmcnt(0)
	v_mul_f32_e32 v13, v5, v3
	v_mul_f32_e32 v3, v4, v3
	v_fmac_f32_e32 v13, v4, v2
	v_fma_f32 v4, v2, v5, -v3
	v_cvt_f64_f32_e32 v[2:3], v13
	v_cvt_f64_f32_e32 v[4:5], v4
	v_mad_u64_u32 v[12:13], s[10:11], s5, v12, v[9:10]
	v_mul_f64 v[2:3], v[2:3], s[0:1]
	v_mul_f64 v[4:5], v[4:5], s[0:1]
	v_mov_b32_e32 v9, v12
	v_lshlrev_b64 v[8:9], 3, v[8:9]
	v_cvt_f32_f64_e32 v2, v[2:3]
	v_cvt_f32_f64_e32 v3, v[4:5]
	v_add_co_u32_e32 v4, vcc, v0, v8
	v_addc_co_u32_e32 v5, vcc, v1, v9, vcc
	global_store_dwordx2 v[4:5], v[2:3], off
	global_load_dwordx2 v[8:9], v[10:11], off offset:2816
	v_add_u32_e32 v2, 0x1800, v149
	ds_read2_b64 v[2:5], v2 offset0:96 offset1:192
	v_add_co_u32_e32 v6, vcc, s7, v6
	s_waitcnt vmcnt(0) lgkmcnt(0)
	v_mul_f32_e32 v12, v3, v9
	v_mul_f32_e32 v9, v2, v9
	v_fmac_f32_e32 v12, v2, v8
	v_fma_f32 v8, v8, v3, -v9
	v_cvt_f64_f32_e32 v[2:3], v12
	v_cvt_f64_f32_e32 v[8:9], v8
	v_mov_b32_e32 v12, s8
	v_addc_co_u32_e32 v7, vcc, v7, v12, vcc
	v_mul_f64 v[2:3], v[2:3], s[0:1]
	v_mul_f64 v[8:9], v[8:9], s[0:1]
	v_cvt_f32_f64_e32 v2, v[2:3]
	v_cvt_f32_f64_e32 v3, v[8:9]
	global_store_dwordx2 v[6:7], v[2:3], off
	global_load_dwordx2 v[2:3], v[10:11], off offset:3584
	v_mov_b32_e32 v10, s6
	s_waitcnt vmcnt(0)
	v_mul_f32_e32 v8, v5, v3
	v_mul_f32_e32 v3, v4, v3
	v_fmac_f32_e32 v8, v4, v2
	v_fma_f32 v4, v2, v5, -v3
	v_cvt_f64_f32_e32 v[2:3], v8
	v_cvt_f64_f32_e32 v[4:5], v4
	v_add_co_u32_e32 v8, vcc, s2, v14
	v_mul_f64 v[2:3], v[2:3], s[0:1]
	v_mul_f64 v[4:5], v[4:5], s[0:1]
	v_addc_co_u32_e32 v9, vcc, 0, v15, vcc
	v_add_co_u32_e32 v6, vcc, s3, v6
	v_addc_co_u32_e32 v7, vcc, v7, v10, vcc
	v_cvt_f32_f64_e32 v2, v[2:3]
	v_cvt_f32_f64_e32 v3, v[4:5]
	v_mov_b32_e32 v14, s6
	global_store_dwordx2 v[6:7], v[2:3], off
	global_load_dwordx2 v[10:11], v[8:9], off offset:256
	v_add_u32_e32 v2, 0x2000, v149
	ds_read2_b64 v[2:5], v2 offset0:32 offset1:128
	v_add_co_u32_e32 v6, vcc, s3, v6
	v_addc_co_u32_e32 v7, vcc, v7, v14, vcc
	s_waitcnt vmcnt(0) lgkmcnt(0)
	v_mul_f32_e32 v12, v3, v11
	v_mul_f32_e32 v11, v2, v11
	v_fmac_f32_e32 v12, v2, v10
	v_fma_f32 v10, v10, v3, -v11
	v_cvt_f64_f32_e32 v[2:3], v12
	v_cvt_f64_f32_e32 v[10:11], v10
	v_or_b32_e32 v12, 0x480, v134
	v_lshlrev_b32_e32 v13, 3, v12
	v_mul_f64 v[2:3], v[2:3], s[0:1]
	v_mul_f64 v[10:11], v[10:11], s[0:1]
	v_cvt_f32_f64_e32 v2, v[2:3]
	v_cvt_f32_f64_e32 v3, v[10:11]
	v_mad_u64_u32 v[10:11], s[10:11], s4, v12, 0
	global_store_dwordx2 v[6:7], v[2:3], off
	global_load_dwordx2 v[2:3], v13, s[12:13]
	v_mad_u64_u32 v[11:12], s[10:11], s5, v12, v[11:12]
	v_lshlrev_b64 v[10:11], 3, v[10:11]
	s_waitcnt vmcnt(0)
	v_mul_f32_e32 v13, v5, v3
	v_mul_f32_e32 v3, v4, v3
	v_fmac_f32_e32 v13, v4, v2
	v_fma_f32 v4, v2, v5, -v3
	v_cvt_f64_f32_e32 v[2:3], v13
	v_cvt_f64_f32_e32 v[4:5], v4
	v_mul_f64 v[2:3], v[2:3], s[0:1]
	v_mul_f64 v[4:5], v[4:5], s[0:1]
	v_cvt_f32_f64_e32 v2, v[2:3]
	v_cvt_f32_f64_e32 v3, v[4:5]
	v_add_co_u32_e32 v4, vcc, v0, v10
	v_addc_co_u32_e32 v5, vcc, v1, v11, vcc
	global_store_dwordx2 v[4:5], v[2:3], off
	global_load_dwordx2 v[10:11], v[8:9], off offset:1792
	v_add_u32_e32 v2, 0x2400, v149
	ds_read2_b64 v[2:5], v2 offset0:96 offset1:192
	v_add_co_u32_e32 v6, vcc, s7, v6
	s_waitcnt vmcnt(0) lgkmcnt(0)
	v_mul_f32_e32 v12, v3, v11
	v_mul_f32_e32 v11, v2, v11
	v_fmac_f32_e32 v12, v2, v10
	v_fma_f32 v10, v10, v3, -v11
	v_cvt_f64_f32_e32 v[2:3], v12
	v_cvt_f64_f32_e32 v[10:11], v10
	v_mov_b32_e32 v12, s8
	v_addc_co_u32_e32 v7, vcc, v7, v12, vcc
	v_mul_f64 v[2:3], v[2:3], s[0:1]
	v_mul_f64 v[10:11], v[10:11], s[0:1]
	v_mov_b32_e32 v12, s6
	v_cvt_f32_f64_e32 v2, v[2:3]
	v_cvt_f32_f64_e32 v3, v[10:11]
	global_store_dwordx2 v[6:7], v[2:3], off
	global_load_dwordx2 v[2:3], v[8:9], off offset:2560
	v_add_co_u32_e32 v6, vcc, s3, v6
	s_waitcnt vmcnt(0)
	v_mul_f32_e32 v10, v5, v3
	v_mul_f32_e32 v3, v4, v3
	v_fmac_f32_e32 v10, v4, v2
	v_fma_f32 v4, v2, v5, -v3
	v_cvt_f64_f32_e32 v[2:3], v10
	v_cvt_f64_f32_e32 v[4:5], v4
	v_mov_b32_e32 v10, s6
	v_addc_co_u32_e32 v7, vcc, v7, v10, vcc
	v_mul_f64 v[2:3], v[2:3], s[0:1]
	v_mul_f64 v[4:5], v[4:5], s[0:1]
	v_cvt_f32_f64_e32 v2, v[2:3]
	v_cvt_f32_f64_e32 v3, v[4:5]
	global_store_dwordx2 v[6:7], v[2:3], off
	global_load_dwordx2 v[8:9], v[8:9], off offset:3328
	v_add_u32_e32 v2, 0x2c00, v149
	ds_read2_b64 v[2:5], v2 offset0:32 offset1:128
	v_add_co_u32_e32 v6, vcc, s3, v6
	v_addc_co_u32_e32 v7, vcc, v7, v12, vcc
	s_waitcnt vmcnt(0) lgkmcnt(0)
	v_mul_f32_e32 v10, v3, v9
	v_mul_f32_e32 v9, v2, v9
	v_fmac_f32_e32 v10, v2, v8
	v_fma_f32 v8, v8, v3, -v9
	v_cvt_f64_f32_e32 v[2:3], v10
	v_cvt_f64_f32_e32 v[8:9], v8
	v_or_b32_e32 v10, 0x600, v134
	v_lshlrev_b32_e32 v11, 3, v10
	v_mul_f64 v[2:3], v[2:3], s[0:1]
	v_mul_f64 v[8:9], v[8:9], s[0:1]
	v_cvt_f32_f64_e32 v2, v[2:3]
	v_cvt_f32_f64_e32 v3, v[8:9]
	global_store_dwordx2 v[6:7], v[2:3], off
	global_load_dwordx2 v[2:3], v11, s[12:13]
	v_mad_u64_u32 v[6:7], s[2:3], s4, v10, 0
	s_waitcnt vmcnt(0)
	v_mul_f32_e32 v8, v5, v3
	v_mul_f32_e32 v3, v4, v3
	v_fmac_f32_e32 v8, v4, v2
	v_fma_f32 v4, v2, v5, -v3
	v_cvt_f64_f32_e32 v[2:3], v8
	v_cvt_f64_f32_e32 v[4:5], v4
	v_mul_f64 v[2:3], v[2:3], s[0:1]
	v_mul_f64 v[4:5], v[4:5], s[0:1]
	v_mad_u64_u32 v[7:8], s[0:1], s5, v10, v[7:8]
	v_lshlrev_b64 v[6:7], 3, v[6:7]
	v_cvt_f32_f64_e32 v2, v[2:3]
	v_cvt_f32_f64_e32 v3, v[4:5]
	v_add_co_u32_e32 v0, vcc, v0, v6
	v_addc_co_u32_e32 v1, vcc, v1, v7, vcc
	global_store_dwordx2 v[0:1], v[2:3], off
.LBB0_23:
	s_endpgm
	.section	.rodata,"a",@progbits
	.p2align	6, 0x0
	.amdhsa_kernel bluestein_single_back_len1632_dim1_sp_op_CI_CI
		.amdhsa_group_segment_fixed_size 13056
		.amdhsa_private_segment_fixed_size 152
		.amdhsa_kernarg_size 104
		.amdhsa_user_sgpr_count 6
		.amdhsa_user_sgpr_private_segment_buffer 1
		.amdhsa_user_sgpr_dispatch_ptr 0
		.amdhsa_user_sgpr_queue_ptr 0
		.amdhsa_user_sgpr_kernarg_segment_ptr 1
		.amdhsa_user_sgpr_dispatch_id 0
		.amdhsa_user_sgpr_flat_scratch_init 0
		.amdhsa_user_sgpr_private_segment_size 0
		.amdhsa_uses_dynamic_stack 0
		.amdhsa_system_sgpr_private_segment_wavefront_offset 1
		.amdhsa_system_sgpr_workgroup_id_x 1
		.amdhsa_system_sgpr_workgroup_id_y 0
		.amdhsa_system_sgpr_workgroup_id_z 0
		.amdhsa_system_sgpr_workgroup_info 0
		.amdhsa_system_vgpr_workitem_id 0
		.amdhsa_next_free_vgpr 256
		.amdhsa_next_free_sgpr 28
		.amdhsa_reserve_vcc 1
		.amdhsa_reserve_flat_scratch 0
		.amdhsa_float_round_mode_32 0
		.amdhsa_float_round_mode_16_64 0
		.amdhsa_float_denorm_mode_32 3
		.amdhsa_float_denorm_mode_16_64 3
		.amdhsa_dx10_clamp 1
		.amdhsa_ieee_mode 1
		.amdhsa_fp16_overflow 0
		.amdhsa_exception_fp_ieee_invalid_op 0
		.amdhsa_exception_fp_denorm_src 0
		.amdhsa_exception_fp_ieee_div_zero 0
		.amdhsa_exception_fp_ieee_overflow 0
		.amdhsa_exception_fp_ieee_underflow 0
		.amdhsa_exception_fp_ieee_inexact 0
		.amdhsa_exception_int_div_zero 0
	.end_amdhsa_kernel
	.text
.Lfunc_end0:
	.size	bluestein_single_back_len1632_dim1_sp_op_CI_CI, .Lfunc_end0-bluestein_single_back_len1632_dim1_sp_op_CI_CI
                                        ; -- End function
	.section	.AMDGPU.csdata,"",@progbits
; Kernel info:
; codeLenInByte = 22956
; NumSgprs: 32
; NumVgprs: 256
; ScratchSize: 152
; MemoryBound: 0
; FloatMode: 240
; IeeeMode: 1
; LDSByteSize: 13056 bytes/workgroup (compile time only)
; SGPRBlocks: 3
; VGPRBlocks: 63
; NumSGPRsForWavesPerEU: 32
; NumVGPRsForWavesPerEU: 256
; Occupancy: 1
; WaveLimiterHint : 1
; COMPUTE_PGM_RSRC2:SCRATCH_EN: 1
; COMPUTE_PGM_RSRC2:USER_SGPR: 6
; COMPUTE_PGM_RSRC2:TRAP_HANDLER: 0
; COMPUTE_PGM_RSRC2:TGID_X_EN: 1
; COMPUTE_PGM_RSRC2:TGID_Y_EN: 0
; COMPUTE_PGM_RSRC2:TGID_Z_EN: 0
; COMPUTE_PGM_RSRC2:TIDIG_COMP_CNT: 0
	.type	__hip_cuid_630b535e9b4790ca,@object ; @__hip_cuid_630b535e9b4790ca
	.section	.bss,"aw",@nobits
	.globl	__hip_cuid_630b535e9b4790ca
__hip_cuid_630b535e9b4790ca:
	.byte	0                               ; 0x0
	.size	__hip_cuid_630b535e9b4790ca, 1

	.ident	"AMD clang version 19.0.0git (https://github.com/RadeonOpenCompute/llvm-project roc-6.4.0 25133 c7fe45cf4b819c5991fe208aaa96edf142730f1d)"
	.section	".note.GNU-stack","",@progbits
	.addrsig
	.addrsig_sym __hip_cuid_630b535e9b4790ca
	.amdgpu_metadata
---
amdhsa.kernels:
  - .args:
      - .actual_access:  read_only
        .address_space:  global
        .offset:         0
        .size:           8
        .value_kind:     global_buffer
      - .actual_access:  read_only
        .address_space:  global
        .offset:         8
        .size:           8
        .value_kind:     global_buffer
      - .actual_access:  read_only
        .address_space:  global
        .offset:         16
        .size:           8
        .value_kind:     global_buffer
      - .actual_access:  read_only
        .address_space:  global
        .offset:         24
        .size:           8
        .value_kind:     global_buffer
      - .actual_access:  read_only
        .address_space:  global
        .offset:         32
        .size:           8
        .value_kind:     global_buffer
      - .offset:         40
        .size:           8
        .value_kind:     by_value
      - .address_space:  global
        .offset:         48
        .size:           8
        .value_kind:     global_buffer
      - .address_space:  global
        .offset:         56
        .size:           8
        .value_kind:     global_buffer
      - .address_space:  global
        .offset:         64
        .size:           8
        .value_kind:     global_buffer
      - .address_space:  global
        .offset:         72
        .size:           8
        .value_kind:     global_buffer
      - .offset:         80
        .size:           4
        .value_kind:     by_value
      - .address_space:  global
        .offset:         88
        .size:           8
        .value_kind:     global_buffer
      - .address_space:  global
        .offset:         96
        .size:           8
        .value_kind:     global_buffer
    .group_segment_fixed_size: 13056
    .kernarg_segment_align: 8
    .kernarg_segment_size: 104
    .language:       OpenCL C
    .language_version:
      - 2
      - 0
    .max_flat_workgroup_size: 102
    .name:           bluestein_single_back_len1632_dim1_sp_op_CI_CI
    .private_segment_fixed_size: 152
    .sgpr_count:     32
    .sgpr_spill_count: 0
    .symbol:         bluestein_single_back_len1632_dim1_sp_op_CI_CI.kd
    .uniform_work_group_size: 1
    .uses_dynamic_stack: false
    .vgpr_count:     256
    .vgpr_spill_count: 37
    .wavefront_size: 64
amdhsa.target:   amdgcn-amd-amdhsa--gfx906
amdhsa.version:
  - 1
  - 2
...

	.end_amdgpu_metadata
